;; amdgpu-corpus repo=zjin-lcf/HeCBench kind=compiled arch=gfx950 opt=O3
	.amdgcn_target "amdgcn-amd-amdhsa--gfx950"
	.amdhsa_code_object_version 6
	.text
	.protected	_Z17intt_3_64k_modcrtPjPKm ; -- Begin function _Z17intt_3_64k_modcrtPjPKm
	.globl	_Z17intt_3_64k_modcrtPjPKm
	.p2align	8
	.type	_Z17intt_3_64k_modcrtPjPKm,@function
_Z17intt_3_64k_modcrtPjPKm:             ; @_Z17intt_3_64k_modcrtPjPKm
; %bb.0:
	s_load_dwordx2 s[4:5], s[0:1], 0x8
	v_lshlrev_b32_e32 v34, 3, v0
	s_lshl_b32 s22, s2, 9
	v_and_b32_e32 v1, 0x1f0, v34
	v_and_b32_e32 v35, 1, v0
	v_or3_b32 v2, v35, v1, s22
	v_mov_b32_e32 v3, 0
	s_waitcnt lgkmcnt(0)
	v_lshl_add_u64 v[4:5], v[2:3], 3, s[4:5]
	global_load_dwordx2 v[12:13], v[4:5], off offset:96
	global_load_dwordx2 v[16:17], v[4:5], off offset:32
	global_load_dwordx2 v[6:7], v[4:5], off
	global_load_dwordx2 v[22:23], v[4:5], off offset:16
	global_load_dwordx2 v[14:15], v[4:5], off offset:48
	;; [unrolled: 1-line block ×5, first 2 shown]
	s_mov_b32 s2, 1
	s_mov_b32 s3, -1
	v_mov_b32_e32 v5, v3
	s_mov_b64 s[4:5], -1
	s_waitcnt vmcnt(6)
	v_sub_co_u32_e32 v10, vcc, v16, v12
	s_nop 1
	v_subb_co_u32_e32 v11, vcc, v17, v13, vcc
	v_lshl_add_u64 v[24:25], v[10:11], 0, s[2:3]
	v_cmp_lt_u64_e32 vcc, v[16:17], v[12:13]
	s_nop 1
	v_cndmask_b32_e32 v1, v11, v25, vcc
	v_cndmask_b32_e32 v2, v10, v24, vcc
	v_alignbit_b32 v4, v1, v2, 16
	v_lshlrev_b32_e32 v2, 16, v2
	v_lshl_add_u64 v[2:3], v[4:5], 0, v[2:3]
	v_sub_co_u32_e32 v5, vcc, 0, v4
	s_xor_b64 s[2:3], vcc, -1
	v_cmp_ne_u32_e32 vcc, 0, v2
	v_mov_b32_e32 v11, v2
	s_or_b64 s[6:7], s[2:3], vcc
	v_mov_b32_e32 v10, -1
	s_and_saveexec_b64 s[2:3], s[6:7]
	s_cbranch_execz .LBB0_6
; %bb.1:
	s_mov_b64 s[4:5], 0xffffffff
	v_cmp_lt_u64_e32 vcc, s[4:5], v[2:3]
	s_mov_b64 s[6:7], 0
	s_and_saveexec_b64 s[4:5], vcc
	s_cbranch_execz .LBB0_5
; %bb.2:
	v_cmp_ne_u32_e32 vcc, 0, v4
	v_mov_b32_e32 v5, -1
	s_and_saveexec_b64 s[8:9], vcc
; %bb.3:
	s_mov_b64 s[6:7], exec
	v_not_b32_e32 v5, v4
	v_add_u32_e32 v11, 1, v2
; %bb.4:
	s_or_b64 exec, exec, s[8:9]
	s_and_b64 s[6:7], s[6:7], exec
.LBB0_5:
	s_or_b64 exec, exec, s[4:5]
	s_orn2_b64 s[4:5], s[6:7], exec
	v_mov_b32_e32 v10, v11
.LBB0_6:
	s_or_b64 exec, exec, s[2:3]
	s_and_saveexec_b64 s[2:3], s[4:5]
; %bb.7:
	v_mov_b64_e32 v[2:3], v[10:11]
; %bb.8:
	s_or_b64 exec, exec, s[2:3]
	v_cmp_ge_u32_sdwa s[2:3], v5, v1 src0_sel:DWORD src1_sel:WORD_1
	v_cmp_ne_u32_e32 vcc, 0, v10
	s_or_b64 s[2:3], s[2:3], vcc
	v_sub_u32_sdwa v36, v5, v1 dst_sel:DWORD dst_unused:UNUSED_PAD src0_sel:DWORD src1_sel:WORD_1
                                        ; implicit-def: $vgpr10_vgpr11
	s_and_saveexec_b64 s[4:5], s[2:3]
	s_xor_b64 s[2:3], exec, s[4:5]
; %bb.9:
	v_mov_b32_e32 v10, 0
	v_mov_b32_e32 v11, v2
; %bb.10:
	s_andn2_saveexec_b64 s[2:3], s[2:3]
; %bb.11:
	v_add_co_u32_e32 v36, vcc, 1, v36
	v_mov_b32_e32 v10, 0
	s_nop 0
	v_cndmask_b32_e64 v11, -2, -1, vcc
; %bb.12:
	s_or_b64 exec, exec, s[2:3]
	s_waitcnt vmcnt(0)
	v_sub_co_u32_e32 v2, vcc, v14, v18
	s_mov_b32 s2, 1
	s_nop 0
	v_subb_co_u32_e32 v3, vcc, v15, v19, vcc
	s_mov_b32 s3, -1
	v_lshl_add_u64 v[4:5], v[2:3], 0, s[2:3]
	v_cmp_lt_u64_e32 vcc, v[14:15], v[18:19]
	s_mov_b64 s[4:5], -1
	s_nop 0
	v_cndmask_b32_e32 v1, v3, v5, vcc
	v_cndmask_b32_e32 v2, v2, v4, vcc
	v_mov_b32_e32 v3, 0
	v_alignbit_b32 v24, v1, v2, 16
	v_lshlrev_b32_e32 v2, 16, v2
	v_mov_b32_e32 v25, v3
	v_lshl_add_u64 v[2:3], v[24:25], 0, v[2:3]
	v_sub_co_u32_e32 v5, vcc, 0, v24
	s_xor_b64 s[2:3], vcc, -1
	v_cmp_ne_u32_e32 vcc, 0, v2
	s_or_b64 s[6:7], s[2:3], vcc
	v_mov_b32_e32 v4, -1
	s_and_saveexec_b64 s[2:3], s[6:7]
	s_cbranch_execz .LBB0_18
; %bb.13:
	s_mov_b64 s[4:5], 0xffffffff
	v_cmp_lt_u64_e32 vcc, s[4:5], v[2:3]
	s_mov_b64 s[6:7], 0
	v_mov_b32_e32 v4, v2
	s_and_saveexec_b64 s[4:5], vcc
	s_cbranch_execz .LBB0_17
; %bb.14:
	v_cmp_ne_u32_e32 vcc, 0, v24
	v_mov_b32_e32 v5, -1
	v_mov_b32_e32 v4, v2
	s_and_saveexec_b64 s[8:9], vcc
; %bb.15:
	s_mov_b64 s[6:7], exec
	v_not_b32_e32 v5, v24
	v_add_u32_e32 v4, 1, v2
; %bb.16:
	s_or_b64 exec, exec, s[8:9]
	s_and_b64 s[6:7], s[6:7], exec
.LBB0_17:
	s_or_b64 exec, exec, s[4:5]
	s_orn2_b64 s[4:5], s[6:7], exec
.LBB0_18:
	s_or_b64 exec, exec, s[2:3]
	s_and_saveexec_b64 s[2:3], s[4:5]
; %bb.19:
	v_mov_b64_e32 v[2:3], v[4:5]
; %bb.20:
	s_or_b64 exec, exec, s[2:3]
	v_cmp_ge_u32_sdwa s[2:3], v5, v1 src0_sel:DWORD src1_sel:WORD_1
	v_cmp_ne_u32_e32 vcc, 0, v4
	s_or_b64 s[2:3], s[2:3], vcc
	v_sub_u32_sdwa v1, v5, v1 dst_sel:DWORD dst_unused:UNUSED_PAD src0_sel:DWORD src1_sel:WORD_1
                                        ; implicit-def: $vgpr4_vgpr5
	s_and_saveexec_b64 s[4:5], s[2:3]
	s_xor_b64 s[2:3], exec, s[4:5]
; %bb.21:
	v_mov_b32_e32 v4, 0
	v_mov_b32_e32 v5, v2
; %bb.22:
	s_andn2_saveexec_b64 s[2:3], s[2:3]
; %bb.23:
	v_add_co_u32_e32 v1, vcc, 1, v1
	v_mov_b32_e32 v4, 0
	s_nop 0
	v_cndmask_b32_e64 v5, -2, -1, vcc
; %bb.24:
	s_or_b64 exec, exec, s[2:3]
	v_sub_co_u32_e32 v2, vcc, v22, v20
	s_mov_b32 s3, -1
	s_nop 0
	v_subb_co_u32_e32 v3, vcc, v23, v21, vcc
	s_mov_b32 s2, 1
	v_lshl_add_u64 v[24:25], v[2:3], 0, s[2:3]
	v_cmp_lt_u64_e32 vcc, v[22:23], v[20:21]
	v_or_b32_e32 v4, v4, v1
	s_mov_b64 s[4:5], 0xffffffff
	v_cndmask_b32_e32 v3, v3, v25, vcc
	v_cndmask_b32_e32 v2, v2, v24, vcc
	v_lshl_add_u64 v[24:25], v[4:5], 0, s[4:5]
	v_cmp_lt_u64_e32 vcc, s[2:3], v[4:5]
	s_mov_b32 s2, 0
	v_mov_b32_e32 v33, 0
	v_cndmask_b32_e32 v5, v5, v25, vcc
	v_cndmask_b32_e32 v4, v4, v24, vcc
	v_lshl_add_u64 v[24:25], v[4:5], 0, v[2:3]
	v_lshl_add_u64 v[26:27], v[24:25], 0, s[4:5]
	v_cmp_lt_u64_e32 vcc, v[24:25], v[4:5]
	s_mov_b64 s[8:9], -1
	v_mov_b64_e32 v[28:29], s[2:3]
	v_cndmask_b32_e32 v25, v25, v27, vcc
	v_cndmask_b32_e32 v24, v24, v26, vcc
	v_lshl_add_u64 v[26:27], v[24:25], 0, s[4:5]
	v_cmp_lt_u64_e32 vcc, s[2:3], v[24:25]
	s_nop 1
	v_cndmask_b32_e32 v1, v25, v27, vcc
	v_cndmask_b32_e32 v26, v24, v26, vcc
	v_lshrrev_b32_e32 v32, 8, v1
	v_alignbit_b32 v24, v1, v26, 8
	v_mov_b32_e32 v25, v33
	v_lshl_add_u64 v[30:31], v[24:25], 0, v[32:33]
	v_lshlrev_b32_e32 v33, 24, v26
	v_sub_co_u32_e32 v26, vcc, v33, v32
	s_xor_b64 s[6:7], vcc, -1
	v_cmp_ne_u32_e32 vcc, 0, v30
	s_or_b64 s[10:11], s[6:7], vcc
	s_mov_b64 s[6:7], 0
                                        ; implicit-def: $vgpr24_vgpr25
	s_and_saveexec_b64 s[2:3], s[10:11]
	s_cbranch_execnz .LBB0_55
; %bb.25:
	s_or_b64 exec, exec, s[2:3]
	v_mov_b64_e32 v[30:31], 0xffffffff
	s_and_saveexec_b64 s[2:3], s[8:9]
	s_cbranch_execnz .LBB0_60
.LBB0_26:
	s_or_b64 exec, exec, s[2:3]
	s_and_saveexec_b64 s[2:3], s[6:7]
.LBB0_27:
	v_or_b32_e32 v31, v29, v31
	v_mov_b64_e32 v[24:25], v[30:31]
.LBB0_28:
	s_or_b64 exec, exec, s[2:3]
	v_lshl_add_u64 v[22:23], v[20:21], 0, v[22:23]
	s_mov_b64 s[2:3], 0xffffffff
	v_lshl_add_u64 v[26:27], v[22:23], 0, s[2:3]
	v_cmp_lt_u64_e32 vcc, v[22:23], v[20:21]
	s_mov_b32 s5, -1
	s_mov_b32 s4, 0
	v_cndmask_b32_e32 v21, v23, v27, vcc
	v_cndmask_b32_e32 v20, v22, v26, vcc
	v_lshl_add_u64 v[22:23], v[20:21], 0, s[2:3]
	v_cmp_lt_u64_e32 vcc, s[4:5], v[20:21]
	v_lshl_add_u64 v[14:15], v[18:19], 0, v[14:15]
	s_mov_b64 s[6:7], -1
	v_cndmask_b32_e32 v21, v21, v23, vcc
	v_cndmask_b32_e32 v20, v20, v22, vcc
	v_lshl_add_u64 v[22:23], v[14:15], 0, s[2:3]
	v_cmp_lt_u64_e32 vcc, v[14:15], v[18:19]
	s_nop 1
	v_cndmask_b32_e32 v15, v15, v23, vcc
	v_cndmask_b32_e32 v14, v14, v22, vcc
	v_lshl_add_u64 v[18:19], v[14:15], 0, s[2:3]
	v_cmp_lt_u64_e32 vcc, s[4:5], v[14:15]
	s_mov_b32 s4, 1
	s_nop 0
	v_cndmask_b32_e32 v14, v14, v18, vcc
	v_cndmask_b32_e32 v15, v15, v19, vcc
	v_sub_co_u32_e32 v18, vcc, v20, v14
	s_nop 1
	v_subb_co_u32_e32 v19, vcc, v21, v15, vcc
	v_lshl_add_u64 v[22:23], v[18:19], 0, s[4:5]
	v_cmp_lt_u64_e32 vcc, v[20:21], v[14:15]
	s_nop 1
	v_cndmask_b32_e32 v1, v19, v23, vcc
	v_cndmask_b32_e32 v18, v18, v22, vcc
	v_mov_b32_e32 v19, 0
	v_alignbit_b32 v26, v1, v18, 16
	v_lshlrev_b32_e32 v18, 16, v18
	v_mov_b32_e32 v27, v19
	v_lshl_add_u64 v[18:19], v[26:27], 0, v[18:19]
	v_sub_co_u32_e32 v23, vcc, 0, v26
	s_xor_b64 s[4:5], vcc, -1
	v_cmp_ne_u32_e32 vcc, 0, v18
	s_or_b64 s[8:9], s[4:5], vcc
	v_mov_b32_e32 v22, -1
	s_and_saveexec_b64 s[4:5], s[8:9]
	s_cbranch_execz .LBB0_34
; %bb.29:
	v_cmp_lt_u64_e32 vcc, s[2:3], v[18:19]
	s_mov_b64 s[6:7], 0
	v_mov_b32_e32 v22, v18
	s_and_saveexec_b64 s[2:3], vcc
	s_cbranch_execz .LBB0_33
; %bb.30:
	v_cmp_ne_u32_e32 vcc, 0, v26
	v_mov_b32_e32 v23, -1
	v_mov_b32_e32 v22, v18
	s_and_saveexec_b64 s[8:9], vcc
; %bb.31:
	s_mov_b64 s[6:7], exec
	v_not_b32_e32 v23, v26
	v_add_u32_e32 v22, 1, v18
; %bb.32:
	s_or_b64 exec, exec, s[8:9]
	s_and_b64 s[6:7], s[6:7], exec
.LBB0_33:
	s_or_b64 exec, exec, s[2:3]
	s_orn2_b64 s[6:7], s[6:7], exec
.LBB0_34:
	s_or_b64 exec, exec, s[4:5]
	s_and_saveexec_b64 s[2:3], s[6:7]
; %bb.35:
	v_mov_b64_e32 v[18:19], v[22:23]
; %bb.36:
	s_or_b64 exec, exec, s[2:3]
	v_cmp_ge_u32_sdwa s[2:3], v23, v1 src0_sel:DWORD src1_sel:WORD_1
	v_cmp_ne_u32_e32 vcc, 0, v22
	s_or_b64 s[2:3], s[2:3], vcc
	v_sub_u32_sdwa v33, v23, v1 dst_sel:DWORD dst_unused:UNUSED_PAD src0_sel:DWORD src1_sel:WORD_1
                                        ; implicit-def: $vgpr22_vgpr23
	s_and_saveexec_b64 s[4:5], s[2:3]
	s_xor_b64 s[2:3], exec, s[4:5]
; %bb.37:
	v_mov_b32_e32 v22, 0
	v_mov_b32_e32 v23, v18
; %bb.38:
	s_andn2_saveexec_b64 s[2:3], s[2:3]
; %bb.39:
	v_add_co_u32_e32 v33, vcc, 1, v33
	v_mov_b32_e32 v22, 0
	s_nop 0
	v_cndmask_b32_e64 v23, -2, -1, vcc
; %bb.40:
	s_or_b64 exec, exec, s[2:3]
	v_lshl_add_u64 v[18:19], v[14:15], 0, v[20:21]
	s_mov_b64 s[4:5], 0xffffffff
	v_lshl_add_u64 v[20:21], v[18:19], 0, s[4:5]
	v_cmp_lt_u64_e32 vcc, v[18:19], v[14:15]
	s_mov_b32 s8, 0
	s_mov_b32 s9, -1
	v_cndmask_b32_e32 v15, v19, v21, vcc
	v_cndmask_b32_e32 v14, v18, v20, vcc
	v_lshl_add_u64 v[18:19], v[14:15], 0, s[4:5]
	v_cmp_lt_u64_e32 vcc, s[8:9], v[14:15]
	v_or_b32_e32 v10, v10, v36
	s_mov_b32 s10, 1
	s_mov_b32 s11, s9
	v_cndmask_b32_e32 v15, v15, v19, vcc
	v_cndmask_b32_e32 v14, v14, v18, vcc
	v_lshl_add_u64 v[18:19], v[10:11], 0, s[4:5]
	v_cmp_lt_u64_e32 vcc, s[10:11], v[10:11]
	v_lshl_add_u64 v[16:17], v[12:13], 0, v[16:17]
	v_lshlrev_b32_e32 v1, 2, v0
	v_cndmask_b32_e32 v19, v11, v19, vcc
	v_cndmask_b32_e32 v18, v10, v18, vcc
	v_sub_co_u32_e32 v10, vcc, v6, v8
	v_and_b32_e32 v32, 4, v1
	s_nop 0
	v_subb_co_u32_e32 v11, vcc, v7, v9, vcc
	v_lshl_add_u64 v[20:21], v[10:11], 0, s[10:11]
	v_cmp_lt_u64_e32 vcc, v[6:7], v[8:9]
	v_lshl_add_u64 v[6:7], v[8:9], 0, v[6:7]
	v_lshlrev_b32_e32 v1, 3, v34
	v_cndmask_b32_e32 v21, v11, v21, vcc
	v_cndmask_b32_e32 v20, v10, v20, vcc
	v_lshl_add_u64 v[10:11], v[18:19], 0, v[20:21]
	v_lshl_add_u64 v[26:27], v[10:11], 0, s[4:5]
	v_cmp_lt_u64_e32 vcc, v[10:11], v[18:19]
	s_nop 1
	v_cndmask_b32_e32 v11, v11, v27, vcc
	v_cndmask_b32_e32 v10, v10, v26, vcc
	v_lshl_add_u64 v[26:27], v[10:11], 0, s[4:5]
	v_cmp_lt_u64_e32 vcc, s[8:9], v[10:11]
	s_nop 1
	v_cndmask_b32_e32 v11, v11, v27, vcc
	v_cndmask_b32_e32 v10, v10, v26, vcc
	;; [unrolled: 5-line block ×6, first 2 shown]
	v_lshl_add_u64 v[8:9], v[26:27], 0, v[6:7]
	v_lshl_add_u64 v[12:13], v[8:9], 0, s[4:5]
	v_cmp_lt_u64_e32 vcc, v[8:9], v[26:27]
	s_nop 1
	v_cndmask_b32_e32 v9, v9, v13, vcc
	v_cndmask_b32_e32 v8, v8, v12, vcc
	v_lshl_add_u64 v[12:13], v[8:9], 0, s[4:5]
	v_cmp_lt_u64_e32 vcc, s[8:9], v[8:9]
	s_nop 1
	v_cndmask_b32_e32 v17, v9, v13, vcc
	v_cndmask_b32_e32 v16, v8, v12, vcc
	;; [unrolled: 5-line block ×3, first 2 shown]
	v_lshl_add_u64 v[8:9], v[12:13], 0, v[10:11]
	v_lshl_add_u64 v[24:25], v[8:9], 0, s[4:5]
	v_cmp_lt_u64_e32 vcc, v[8:9], v[12:13]
	s_nop 1
	v_cndmask_b32_e32 v9, v9, v25, vcc
	v_cndmask_b32_e32 v8, v8, v24, vcc
	v_lshl_add_u64 v[24:25], v[8:9], 0, s[4:5]
	v_cmp_lt_u64_e32 vcc, s[8:9], v[8:9]
	s_nop 1
	v_cndmask_b32_e32 v25, v9, v25, vcc
	v_cndmask_b32_e32 v24, v8, v24, vcc
	v_lshl_add_u64 v[8:9], v[14:15], 0, v[16:17]
	v_lshl_add_u64 v[28:29], v[8:9], 0, s[4:5]
	v_cmp_lt_u64_e32 vcc, v[8:9], v[14:15]
	s_nop 1
	v_cndmask_b32_e32 v9, v9, v29, vcc
	v_cndmask_b32_e32 v8, v8, v28, vcc
	v_lshl_add_u64 v[28:29], v[8:9], 0, s[4:5]
	v_cmp_lt_u64_e32 vcc, s[8:9], v[8:9]
	s_nop 1
	v_cndmask_b32_e32 v9, v9, v29, vcc
	v_cndmask_b32_e32 v8, v8, v28, vcc
	;; [unrolled: 5-line block ×3, first 2 shown]
	v_cmp_eq_u32_e32 vcc, 1, v35
	ds_write_b64 v1, v[8:9]
	s_and_saveexec_b64 s[6:7], vcc
	s_cbranch_execz .LBB0_46
; %bb.41:
	v_mul_u32_u24_e32 v35, 3, v32
	v_sub_u32_e32 v8, 64, v35
	v_lshrrev_b64 v[28:29], v8, v[24:25]
	v_sub_u32_e32 v8, 32, v35
	v_lshrrev_b64 v[8:9], v8, v[24:25]
	v_mov_b32_e32 v9, 0
	v_lshlrev_b32_e32 v35, v35, v24
	v_lshl_add_u64 v[30:31], v[8:9], 0, v[28:29]
	v_sub_co_u32_e64 v8, s[2:3], v35, v28
	s_xor_b64 s[12:13], s[2:3], -1
	v_cmp_ne_u32_e64 s[2:3], 0, v30
	s_mov_b64 s[14:15], -1
	s_or_b64 s[16:17], s[12:13], s[2:3]
	s_mov_b64 s[2:3], 0
	v_mov_b32_e32 v29, -1
                                        ; implicit-def: $vgpr24_vgpr25
	s_and_saveexec_b64 s[12:13], s[16:17]
	s_cbranch_execnz .LBB0_104
; %bb.42:
	s_or_b64 exec, exec, s[12:13]
	v_mov_b64_e32 v[30:31], 0xffffffff
	s_and_saveexec_b64 s[12:13], s[14:15]
	s_cbranch_execnz .LBB0_109
.LBB0_43:
	s_or_b64 exec, exec, s[12:13]
	s_and_saveexec_b64 s[12:13], s[2:3]
.LBB0_44:
	v_or_b32_e32 v31, v29, v31
	v_mov_b64_e32 v[24:25], v[30:31]
.LBB0_45:
	s_or_b64 exec, exec, s[12:13]
.LBB0_46:
	s_or_b64 exec, exec, s[6:7]
	s_load_dwordx2 s[6:7], s[0:1], 0x0
	v_sub_co_u32_e64 v8, s[0:1], v6, v26
	v_or_b32_e32 v22, v22, v33
	s_nop 0
	v_subb_co_u32_e64 v9, s[0:1], v7, v27, s[0:1]
	v_lshl_add_u64 v[28:29], v[8:9], 0, s[10:11]
	v_cmp_lt_u64_e64 s[0:1], v[6:7], v[26:27]
	s_nop 1
	v_cndmask_b32_e64 v7, v9, v29, s[0:1]
	v_cndmask_b32_e64 v6, v8, v28, s[0:1]
	v_lshl_add_u64 v[8:9], v[22:23], 0, s[4:5]
	v_cmp_lt_u64_e64 s[0:1], s[10:11], v[22:23]
	s_nop 1
	v_cndmask_b32_e64 v9, v23, v9, s[0:1]
	v_cndmask_b32_e64 v8, v22, v8, s[0:1]
	v_lshl_add_u64 v[22:23], v[8:9], 0, v[6:7]
	v_lshl_add_u64 v[26:27], v[22:23], 0, s[4:5]
	v_cmp_lt_u64_e64 s[0:1], v[22:23], v[8:9]
	s_nop 1
	v_cndmask_b32_e64 v23, v23, v27, s[0:1]
	v_cndmask_b32_e64 v22, v22, v26, s[0:1]
	v_lshl_add_u64 v[26:27], v[22:23], 0, s[4:5]
	v_cmp_lt_u64_e64 s[0:1], s[8:9], v[22:23]
	s_nop 1
	v_cndmask_b32_e64 v27, v23, v27, s[0:1]
	v_cndmask_b32_e64 v26, v22, v26, s[0:1]
	;; [unrolled: 5-line block ×3, first 2 shown]
	ds_write_b64 v1, v[22:23] offset:8
	s_and_saveexec_b64 s[2:3], vcc
	s_cbranch_execz .LBB0_52
; %bb.47:
	v_mul_u32_u24_e32 v28, 6, v32
	v_sub_u32_e32 v22, 64, v28
	v_lshrrev_b64 v[24:25], v22, v[26:27]
	v_sub_u32_e32 v22, 32, v28
	v_lshrrev_b64 v[22:23], v22, v[26:27]
	v_lshlrev_b64 v[30:31], v28, v[26:27]
	v_mov_b32_e32 v23, 0
	v_lshl_add_u64 v[28:29], v[22:23], 0, v[24:25]
	v_sub_co_u32_e64 v22, s[0:1], v30, v24
	s_xor_b64 s[4:5], s[0:1], -1
	v_cmp_ne_u32_e64 s[0:1], 0, v28
	s_mov_b64 s[8:9], -1
	s_or_b64 s[10:11], s[4:5], s[0:1]
	s_mov_b64 s[0:1], 0
	v_mov_b32_e32 v25, -1
                                        ; implicit-def: $vgpr26_vgpr27
	s_and_saveexec_b64 s[4:5], s[10:11]
	s_cbranch_execnz .LBB0_110
; %bb.48:
	s_or_b64 exec, exec, s[4:5]
	v_mov_b64_e32 v[28:29], 0xffffffff
	s_and_saveexec_b64 s[4:5], s[8:9]
	s_cbranch_execnz .LBB0_115
.LBB0_49:
	s_or_b64 exec, exec, s[4:5]
	s_and_saveexec_b64 s[4:5], s[0:1]
.LBB0_50:
	v_or_b32_e32 v29, v25, v29
	v_mov_b64_e32 v[26:27], v[28:29]
.LBB0_51:
	s_or_b64 exec, exec, s[4:5]
.LBB0_52:
	s_or_b64 exec, exec, s[2:3]
	s_mov_b32 s8, 1
	s_mov_b32 s9, -1
	s_mov_b64 s[10:11], 0xffffffff
	v_lshl_add_u64 v[22:23], v[26:27], 0, s[10:11]
	v_cmp_lt_u64_e64 s[0:1], s[8:9], v[26:27]
	s_mov_b32 s12, 0
	s_mov_b32 s13, s9
	v_cndmask_b32_e64 v23, v27, v23, s[0:1]
	v_cndmask_b32_e64 v22, v26, v22, s[0:1]
	ds_write_b64 v1, v[22:23] offset:16
	v_sub_co_u32_e64 v22, s[0:1], v2, v4
	v_mul_u32_u24_e32 v26, 9, v32
	s_nop 0
	v_subb_co_u32_e64 v23, s[0:1], v3, v5, s[0:1]
	v_lshl_add_u64 v[24:25], v[22:23], 0, s[8:9]
	v_cmp_lt_u64_e64 s[0:1], v[2:3], v[4:5]
	s_nop 1
	v_cndmask_b32_e64 v23, v23, v25, s[0:1]
	v_cndmask_b32_e64 v22, v22, v24, s[0:1]
	v_sub_co_u32_e64 v2, s[0:1], v20, v18
	s_nop 1
	v_subb_co_u32_e64 v3, s[0:1], v21, v19, s[0:1]
	v_lshl_add_u64 v[4:5], v[2:3], 0, s[8:9]
	v_cmp_lt_u64_e64 s[0:1], v[20:21], v[18:19]
	v_lshlrev_b32_e32 v18, 8, v22
	v_sub_u32_e32 v19, 0, v18
	v_cndmask_b32_e64 v3, v3, v5, s[0:1]
	v_alignbit_b32 v5, v23, v22, 24
	v_cndmask_b32_e64 v2, v2, v4, s[0:1]
	v_sub_co_u32_e64 v5, s[0:1], v19, v5
	v_cmp_eq_u32_e64 s[2:3], 0, v18
	v_cmp_eq_u32_e64 s[4:5], -1, v5
	s_and_b64 s[0:1], s[0:1], s[2:3]
	v_lshrrev_b32_e32 v4, 24, v23
	v_cndmask_b32_e64 v19, -2, -1, s[4:5]
	v_cndmask_b32_e64 v18, v18, v19, s[0:1]
	v_addc_co_u32_e64 v5, s[0:1], 0, v5, s[0:1]
	v_sub_co_u32_e64 v18, s[0:1], v18, v4
	v_add_u32_e32 v4, -1, v18
	v_add_co_u32_e64 v19, s[2:3], 1, v5
	s_nop 1
	v_cndmask_b32_e64 v20, v4, v18, s[2:3]
	v_cndmask_b32_e64 v4, v5, v19, s[0:1]
	;; [unrolled: 1-line block ×3, first 2 shown]
	v_lshl_add_u64 v[18:19], v[4:5], 0, s[10:11]
	v_cmp_lt_u64_e64 s[0:1], s[8:9], v[4:5]
	s_mov_b64 s[8:9], 0
	s_nop 0
	v_cndmask_b32_e64 v5, v5, v19, s[0:1]
	v_cndmask_b32_e64 v4, v4, v18, s[0:1]
	v_lshl_add_u64 v[18:19], v[4:5], 0, v[2:3]
	v_lshl_add_u64 v[20:21], v[18:19], 0, s[10:11]
	v_cmp_lt_u64_e64 s[0:1], v[18:19], v[4:5]
	s_nop 1
	v_cndmask_b32_e64 v19, v19, v21, s[0:1]
	v_cndmask_b32_e64 v18, v18, v20, s[0:1]
	v_lshl_add_u64 v[20:21], v[18:19], 0, s[10:11]
	v_cmp_lt_u64_e64 s[0:1], s[12:13], v[18:19]
	s_nop 1
	v_cndmask_b32_e64 v19, v19, v21, s[0:1]
	v_cndmask_b32_e64 v18, v18, v20, s[0:1]
	v_cmp_lt_i32_e64 s[0:1], 23, v26
                                        ; implicit-def: $vgpr20_vgpr21
	s_and_saveexec_b64 s[2:3], s[0:1]
	s_xor_b64 s[4:5], exec, s[2:3]
	s_cbranch_execnz .LBB0_61
; %bb.53:
	s_andn2_saveexec_b64 s[2:3], s[4:5]
	s_cbranch_execnz .LBB0_80
.LBB0_54:
	s_or_b64 exec, exec, s[2:3]
	s_and_saveexec_b64 s[2:3], s[8:9]
	s_cbranch_execnz .LBB0_81
	s_branch .LBB0_86
.LBB0_55:
	v_cmp_lt_u64_e32 vcc, s[4:5], v[30:31]
	v_mov_b32_e32 v27, v30
	s_mov_b64 s[8:9], 0
	v_mov_b32_e32 v29, -1
	s_mov_b64 s[10:11], 0
                                        ; implicit-def: $vgpr1
	s_and_saveexec_b64 s[4:5], vcc
	s_cbranch_execz .LBB0_59
; %bb.56:
	v_cmp_ne_u32_e32 vcc, v33, v32
	s_mov_b64 s[8:9], -1
	v_mov_b64_e32 v[28:29], v[26:27]
                                        ; implicit-def: $vgpr1
	s_and_saveexec_b64 s[10:11], vcc
; %bb.57:
	s_mov_b64 s[6:7], exec
	v_add_u32_e32 v1, -1, v26
	v_add_u32_e32 v29, 1, v30
	s_xor_b64 s[8:9], exec, -1
; %bb.58:
	s_or_b64 exec, exec, s[10:11]
	s_and_b64 s[10:11], s[8:9], exec
	s_and_b64 s[8:9], s[6:7], exec
.LBB0_59:
	s_or_b64 exec, exec, s[4:5]
	s_and_b64 s[6:7], s[10:11], exec
	s_orn2_b64 s[8:9], s[8:9], exec
	v_mov_b64_e32 v[24:25], v[26:27]
	v_mov_b32_e32 v26, v1
	s_or_b64 exec, exec, s[2:3]
	v_mov_b64_e32 v[30:31], 0xffffffff
	s_and_saveexec_b64 s[2:3], s[8:9]
	s_cbranch_execz .LBB0_26
.LBB0_60:
	v_mov_b32_e32 v27, 0
	s_or_b64 s[6:7], s[6:7], exec
	v_mov_b64_e32 v[30:31], v[26:27]
	s_or_b64 exec, exec, s[2:3]
	s_and_saveexec_b64 s[2:3], s[6:7]
	s_cbranch_execnz .LBB0_27
	s_branch .LBB0_28
.LBB0_61:
	v_cmp_lt_i32_e64 s[0:1], 35, v26
                                        ; implicit-def: $vgpr20_vgpr21
	s_and_saveexec_b64 s[2:3], s[0:1]
	s_xor_b64 s[8:9], exec, s[2:3]
	s_cbranch_execz .LBB0_77
; %bb.62:
	v_cmp_eq_u32_e64 s[0:1], 36, v26
	v_mov_b64_e32 v[20:21], v[18:19]
	s_and_saveexec_b64 s[10:11], s[0:1]
	s_cbranch_execz .LBB0_76
; %bb.63:
	v_mov_b32_e32 v21, 0
	v_alignbit_b32 v24, v19, v18, 28
	v_lshlrev_b32_e32 v20, 4, v18
	v_mov_b32_e32 v25, v21
	v_lshl_add_u64 v[22:23], v[24:25], 0, v[20:21]
	v_sub_co_u32_e64 v21, s[0:1], 0, v24
	s_xor_b64 s[2:3], s[0:1], -1
	v_cmp_ne_u32_e64 s[0:1], 0, v22
	s_mov_b64 s[12:13], -1
	s_or_b64 s[0:1], s[2:3], s[0:1]
	v_mov_b32_e32 v20, -1
	s_and_saveexec_b64 s[2:3], s[0:1]
	s_cbranch_execz .LBB0_69
; %bb.64:
	s_mov_b64 s[0:1], 0xffffffff
	v_cmp_lt_u64_e64 s[0:1], s[0:1], v[22:23]
	s_mov_b64 s[14:15], 0
	v_mov_b32_e32 v20, v22
	s_and_saveexec_b64 s[12:13], s[0:1]
	s_cbranch_execz .LBB0_68
; %bb.65:
	v_cmp_ne_u32_e64 s[0:1], 0, v24
	v_mov_b32_e32 v21, -1
	v_mov_b32_e32 v20, v22
	s_and_saveexec_b64 s[16:17], s[0:1]
; %bb.66:
	s_mov_b64 s[14:15], exec
	v_not_b32_e32 v21, v24
	v_add_u32_e32 v20, 1, v22
; %bb.67:
	s_or_b64 exec, exec, s[16:17]
	s_and_b64 s[14:15], s[14:15], exec
.LBB0_68:
	s_or_b64 exec, exec, s[12:13]
	s_orn2_b64 s[12:13], s[14:15], exec
.LBB0_69:
	s_or_b64 exec, exec, s[2:3]
	s_and_saveexec_b64 s[0:1], s[12:13]
; %bb.70:
	v_mov_b64_e32 v[22:23], v[20:21]
; %bb.71:
	s_or_b64 exec, exec, s[0:1]
	v_lshrrev_b32_e32 v23, 28, v19
	v_cmp_ge_u32_e64 s[0:1], v21, v23
	v_cmp_ne_u32_e64 s[2:3], 0, v20
	s_or_b64 s[0:1], s[0:1], s[2:3]
	v_sub_u32_e32 v23, v21, v23
                                        ; implicit-def: $vgpr20_vgpr21
	s_and_saveexec_b64 s[2:3], s[0:1]
	s_xor_b64 s[0:1], exec, s[2:3]
; %bb.72:
	v_mov_b32_e32 v20, 0
	v_mov_b32_e32 v21, v22
; %bb.73:
	s_andn2_saveexec_b64 s[2:3], s[0:1]
; %bb.74:
	v_add_co_u32_e64 v23, s[0:1], 1, v23
	v_mov_b32_e32 v20, 0
	s_nop 0
	v_cndmask_b32_e64 v21, -2, -1, s[0:1]
; %bb.75:
	s_or_b64 exec, exec, s[2:3]
	v_or_b32_e32 v20, v20, v23
.LBB0_76:
	s_or_b64 exec, exec, s[10:11]
.LBB0_77:
	s_or_saveexec_b64 s[2:3], s[8:9]
	s_mov_b64 s[0:1], 0
	s_xor_b64 exec, exec, s[2:3]
; %bb.78:
	v_cmp_eq_u32_e64 s[0:1], 24, v26
	s_and_b64 s[0:1], s[0:1], exec
	v_mov_b64_e32 v[20:21], v[18:19]
; %bb.79:
	s_or_b64 exec, exec, s[2:3]
	s_and_b64 s[8:9], s[0:1], exec
	s_andn2_saveexec_b64 s[2:3], s[4:5]
	s_cbranch_execz .LBB0_54
.LBB0_80:
	v_cmp_eq_u32_e64 s[0:1], 12, v26
	s_andn2_b64 s[4:5], s[8:9], exec
	s_and_b64 s[0:1], s[0:1], exec
	s_or_b64 s[8:9], s[4:5], s[0:1]
	v_mov_b64_e32 v[20:21], v[18:19]
	s_or_b64 exec, exec, s[2:3]
	s_and_saveexec_b64 s[2:3], s[8:9]
	s_cbranch_execz .LBB0_86
.LBB0_81:
	v_sub_u32_e32 v20, 64, v26
	v_lshrrev_b64 v[22:23], v20, v[18:19]
	v_sub_u32_e32 v20, 32, v26
	v_lshrrev_b64 v[20:21], v20, v[18:19]
	v_lshlrev_b64 v[26:27], v26, v[18:19]
	v_mov_b32_e32 v21, 0
	v_lshl_add_u64 v[24:25], v[20:21], 0, v[22:23]
	v_sub_co_u32_e64 v18, s[0:1], v26, v22
	s_xor_b64 s[4:5], s[0:1], -1
	v_cmp_ne_u32_e64 s[0:1], 0, v24
	s_mov_b64 s[8:9], -1
	s_or_b64 s[10:11], s[4:5], s[0:1]
	s_mov_b64 s[0:1], 0
	v_mov_b32_e32 v23, -1
                                        ; implicit-def: $vgpr20_vgpr21
	s_and_saveexec_b64 s[4:5], s[10:11]
	s_cbranch_execnz .LBB0_116
; %bb.82:
	s_or_b64 exec, exec, s[4:5]
	v_mov_b64_e32 v[24:25], 0xffffffff
	s_and_saveexec_b64 s[4:5], s[8:9]
	s_cbranch_execnz .LBB0_121
.LBB0_83:
	s_or_b64 exec, exec, s[4:5]
	s_and_saveexec_b64 s[4:5], s[0:1]
.LBB0_84:
	v_or_b32_e32 v25, v23, v25
	v_mov_b64_e32 v[20:21], v[24:25]
.LBB0_85:
	s_or_b64 exec, exec, s[4:5]
.LBB0_86:
	s_or_b64 exec, exec, s[2:3]
	v_sub_co_u32_e64 v18, s[0:1], v16, v14
	s_mov_b32 s2, 1
	s_nop 0
	v_subb_co_u32_e64 v19, s[0:1], v17, v15, s[0:1]
	s_mov_b32 s3, -1
	v_lshl_add_u64 v[22:23], v[18:19], 0, s[2:3]
	v_cmp_lt_u64_e64 s[0:1], v[16:17], v[14:15]
	s_nop 1
	v_cndmask_b32_e64 v15, v19, v23, s[0:1]
	v_cndmask_b32_e64 v14, v18, v22, s[0:1]
	s_mov_b64 s[0:1], 0xffffffff
	v_lshl_add_u64 v[16:17], v[20:21], 0, s[0:1]
	v_cmp_lt_u64_e64 s[0:1], s[2:3], v[20:21]
	s_nop 1
	v_cndmask_b32_e64 v17, v21, v17, s[0:1]
	v_cndmask_b32_e64 v16, v20, v16, s[0:1]
	ds_write_b64 v1, v[16:17] offset:24
	s_and_saveexec_b64 s[2:3], vcc
	s_cbranch_execz .LBB0_100
; %bb.87:
	v_mul_u32_u24_e32 v19, 12, v32
	v_sub_u32_e32 v16, 64, v19
	v_lshrrev_b64 v[20:21], v16, v[14:15]
	v_not_b32_e32 v16, 31
	v_mad_u32_u24 v16, v32, 12, v16
	v_lshlrev_b64 v[16:17], v16, v[14:15]
	v_mov_b32_e32 v17, 0
	v_mov_b32_e32 v21, v17
	v_lshl_add_u64 v[16:17], v[20:21], 0, v[16:17]
	v_sub_co_u32_e32 v21, vcc, 0, v20
	s_xor_b64 s[0:1], vcc, -1
	v_cmp_ne_u32_e32 vcc, 0, v16
	s_mov_b64 s[4:5], -1
	s_or_b64 s[8:9], s[0:1], vcc
	v_mov_b32_e32 v18, -1
	s_and_saveexec_b64 s[0:1], s[8:9]
	s_cbranch_execz .LBB0_93
; %bb.88:
	s_mov_b64 s[4:5], 0xffffffff
	v_cmp_lt_u64_e32 vcc, s[4:5], v[16:17]
	s_mov_b64 s[8:9], 0
	v_mov_b32_e32 v18, v16
	s_and_saveexec_b64 s[4:5], vcc
	s_cbranch_execz .LBB0_92
; %bb.89:
	v_cmp_ne_u32_e32 vcc, 0, v20
	v_mov_b32_e32 v21, -1
	v_mov_b32_e32 v18, v16
	s_and_saveexec_b64 s[10:11], vcc
; %bb.90:
	s_mov_b64 s[8:9], exec
	v_not_b32_e32 v21, v20
	v_add_u32_e32 v18, 1, v16
; %bb.91:
	s_or_b64 exec, exec, s[10:11]
	s_and_b64 s[8:9], s[8:9], exec
.LBB0_92:
	s_or_b64 exec, exec, s[4:5]
	s_orn2_b64 s[4:5], s[8:9], exec
.LBB0_93:
	s_or_b64 exec, exec, s[0:1]
	s_and_saveexec_b64 s[0:1], s[4:5]
; %bb.94:
	v_mov_b64_e32 v[16:17], v[18:19]
; %bb.95:
	s_or_b64 exec, exec, s[0:1]
	v_sub_u32_e32 v17, 0x60, v19
	v_lshrrev_b64 v[14:15], v17, v[14:15]
	v_cmp_ge_u32_e32 vcc, v21, v14
	v_cmp_ne_u32_e64 s[0:1], 0, v18
	s_or_b64 s[0:1], vcc, s[0:1]
	v_sub_u32_e32 v17, v21, v14
                                        ; implicit-def: $vgpr14_vgpr15
	s_and_saveexec_b64 s[4:5], s[0:1]
	s_xor_b64 s[0:1], exec, s[4:5]
; %bb.96:
	v_mov_b32_e32 v14, 0
	v_mov_b32_e32 v15, v16
; %bb.97:
	s_andn2_saveexec_b64 s[0:1], s[0:1]
; %bb.98:
	v_add_co_u32_e32 v17, vcc, 1, v17
	v_mov_b32_e32 v14, 0
	s_nop 0
	v_cndmask_b32_e64 v15, -2, -1, vcc
; %bb.99:
	s_or_b64 exec, exec, s[0:1]
	v_or_b32_e32 v14, v14, v17
.LBB0_100:
	s_or_b64 exec, exec, s[2:3]
	s_mov_b32 s0, 1
	s_mov_b32 s1, -1
	s_mov_b64 s[2:3], 0xffffffff
	v_lshl_add_u64 v[16:17], v[14:15], 0, s[2:3]
	v_cmp_lt_u64_e32 vcc, s[0:1], v[14:15]
	v_mul_u32_u24_e32 v18, 15, v32
	s_nop 0
	v_cndmask_b32_e32 v15, v15, v17, vcc
	v_cndmask_b32_e32 v14, v14, v16, vcc
	ds_write_b64 v1, v[14:15] offset:32
	v_sub_co_u32_e32 v14, vcc, v10, v12
	s_nop 1
	v_subb_co_u32_e32 v15, vcc, v11, v13, vcc
	v_lshl_add_u64 v[16:17], v[14:15], 0, s[0:1]
	v_cmp_lt_u64_e32 vcc, v[10:11], v[12:13]
	s_nop 1
	v_cndmask_b32_e32 v11, v15, v17, vcc
	v_cndmask_b32_e32 v10, v14, v16, vcc
	v_cmp_lt_i32_e32 vcc, 35, v18
	s_and_saveexec_b64 s[0:1], vcc
	s_xor_b64 s[2:3], exec, s[0:1]
	s_cbranch_execz .LBB0_142
; %bb.101:
	v_cmp_lt_i32_e32 vcc, 47, v18
	s_mov_b64 s[8:9], 0
	s_and_saveexec_b64 s[0:1], vcc
	s_xor_b64 s[0:1], exec, s[0:1]
	s_cbranch_execnz .LBB0_122
; %bb.102:
	s_andn2_saveexec_b64 s[0:1], s[0:1]
	s_cbranch_execnz .LBB0_127
.LBB0_103:
	s_or_b64 exec, exec, s[0:1]
	s_and_saveexec_b64 s[4:5], s[8:9]
	s_cbranch_execnz .LBB0_128
	s_branch .LBB0_141
.LBB0_104:
	s_mov_b64 s[2:3], 0xffffffff
	v_cmp_lt_u64_e64 s[2:3], s[2:3], v[30:31]
	v_mov_b32_e32 v9, v30
	s_mov_b64 s[16:17], 0
	s_mov_b64 s[18:19], 0
                                        ; implicit-def: $vgpr31
	s_and_saveexec_b64 s[14:15], s[2:3]
	s_cbranch_execz .LBB0_108
; %bb.105:
	v_cmp_ne_u32_e64 s[2:3], v35, v28
	s_mov_b64 s[18:19], -1
	v_mov_b64_e32 v[28:29], v[8:9]
                                        ; implicit-def: $vgpr31
	s_and_saveexec_b64 s[20:21], s[2:3]
; %bb.106:
	s_mov_b64 s[16:17], exec
	v_add_u32_e32 v31, -1, v8
	v_add_u32_e32 v29, 1, v30
	s_xor_b64 s[18:19], exec, -1
; %bb.107:
	s_or_b64 exec, exec, s[20:21]
	s_and_b64 s[18:19], s[18:19], exec
	s_and_b64 s[16:17], s[16:17], exec
.LBB0_108:
	s_or_b64 exec, exec, s[14:15]
	s_and_b64 s[2:3], s[18:19], exec
	s_orn2_b64 s[14:15], s[16:17], exec
	v_mov_b64_e32 v[24:25], v[8:9]
	v_mov_b32_e32 v8, v31
	s_or_b64 exec, exec, s[12:13]
	v_mov_b64_e32 v[30:31], 0xffffffff
	s_and_saveexec_b64 s[12:13], s[14:15]
	s_cbranch_execz .LBB0_43
.LBB0_109:
	v_mov_b32_e32 v9, 0
	s_or_b64 s[2:3], s[2:3], exec
	v_mov_b64_e32 v[30:31], v[8:9]
	s_or_b64 exec, exec, s[12:13]
	s_and_saveexec_b64 s[12:13], s[2:3]
	s_cbranch_execnz .LBB0_44
	s_branch .LBB0_45
.LBB0_110:
	s_mov_b64 s[0:1], 0xffffffff
	v_cmp_lt_u64_e64 s[0:1], s[0:1], v[28:29]
	v_mov_b32_e32 v23, v28
	s_mov_b64 s[10:11], 0
	s_mov_b64 s[12:13], 0
                                        ; implicit-def: $vgpr29
	s_and_saveexec_b64 s[8:9], s[0:1]
	s_cbranch_execz .LBB0_114
; %bb.111:
	v_cmp_ne_u32_e64 s[0:1], v30, v24
	s_mov_b64 s[12:13], -1
	v_mov_b64_e32 v[24:25], v[22:23]
                                        ; implicit-def: $vgpr29
	s_and_saveexec_b64 s[14:15], s[0:1]
; %bb.112:
	s_mov_b64 s[10:11], exec
	v_add_u32_e32 v29, -1, v22
	v_add_u32_e32 v25, 1, v28
	s_xor_b64 s[12:13], exec, -1
; %bb.113:
	s_or_b64 exec, exec, s[14:15]
	s_and_b64 s[12:13], s[12:13], exec
	s_and_b64 s[10:11], s[10:11], exec
.LBB0_114:
	s_or_b64 exec, exec, s[8:9]
	s_and_b64 s[0:1], s[12:13], exec
	s_orn2_b64 s[8:9], s[10:11], exec
	v_mov_b64_e32 v[26:27], v[22:23]
	v_mov_b32_e32 v22, v29
	s_or_b64 exec, exec, s[4:5]
	v_mov_b64_e32 v[28:29], 0xffffffff
	s_and_saveexec_b64 s[4:5], s[8:9]
	s_cbranch_execz .LBB0_49
.LBB0_115:
	v_mov_b32_e32 v23, 0
	s_or_b64 s[0:1], s[0:1], exec
	v_mov_b64_e32 v[28:29], v[22:23]
	s_or_b64 exec, exec, s[4:5]
	s_and_saveexec_b64 s[4:5], s[0:1]
	s_cbranch_execnz .LBB0_50
	s_branch .LBB0_51
.LBB0_116:
	s_mov_b64 s[0:1], 0xffffffff
	v_cmp_lt_u64_e64 s[0:1], s[0:1], v[24:25]
	v_mov_b32_e32 v19, v24
	s_mov_b64 s[10:11], 0
	s_mov_b64 s[12:13], 0
                                        ; implicit-def: $vgpr25
	s_and_saveexec_b64 s[8:9], s[0:1]
	s_cbranch_execz .LBB0_120
; %bb.117:
	v_cmp_ne_u32_e64 s[0:1], v26, v22
	s_mov_b64 s[12:13], -1
	v_mov_b64_e32 v[22:23], v[18:19]
                                        ; implicit-def: $vgpr25
	s_and_saveexec_b64 s[14:15], s[0:1]
; %bb.118:
	s_mov_b64 s[10:11], exec
	v_add_u32_e32 v25, -1, v18
	v_add_u32_e32 v23, 1, v24
	s_xor_b64 s[12:13], exec, -1
; %bb.119:
	s_or_b64 exec, exec, s[14:15]
	s_and_b64 s[12:13], s[12:13], exec
	s_and_b64 s[10:11], s[10:11], exec
.LBB0_120:
	s_or_b64 exec, exec, s[8:9]
	s_and_b64 s[0:1], s[12:13], exec
	s_orn2_b64 s[8:9], s[10:11], exec
	v_mov_b64_e32 v[20:21], v[18:19]
	v_mov_b32_e32 v18, v25
	s_or_b64 exec, exec, s[4:5]
	v_mov_b64_e32 v[24:25], 0xffffffff
	s_and_saveexec_b64 s[4:5], s[8:9]
	s_cbranch_execz .LBB0_83
.LBB0_121:
	v_mov_b32_e32 v19, 0
	s_or_b64 s[0:1], s[0:1], exec
	v_mov_b64_e32 v[24:25], v[18:19]
	s_or_b64 exec, exec, s[4:5]
	s_and_saveexec_b64 s[4:5], s[0:1]
	s_cbranch_execnz .LBB0_84
	s_branch .LBB0_85
.LBB0_122:
	v_cmp_lt_i32_e32 vcc, 59, v18
	s_mov_b64 s[4:5], 0
	s_and_saveexec_b64 s[8:9], vcc
	s_xor_b64 s[8:9], exec, s[8:9]
; %bb.123:
	v_cmp_eq_u32_e32 vcc, 60, v18
	s_and_b64 s[4:5], vcc, exec
; %bb.124:
	s_andn2_saveexec_b64 s[8:9], s[8:9]
; %bb.125:
	v_cmp_eq_u32_e32 vcc, 48, v18
	s_andn2_b64 s[4:5], s[4:5], exec
	s_and_b64 s[10:11], vcc, exec
	s_or_b64 s[4:5], s[4:5], s[10:11]
; %bb.126:
	s_or_b64 exec, exec, s[8:9]
	s_and_b64 s[8:9], s[4:5], exec
	s_andn2_saveexec_b64 s[0:1], s[0:1]
	s_cbranch_execz .LBB0_103
.LBB0_127:
	v_cmp_eq_u32_e32 vcc, 36, v18
	s_andn2_b64 s[4:5], s[8:9], exec
	s_and_b64 s[8:9], vcc, exec
	s_or_b64 s[8:9], s[4:5], s[8:9]
	s_or_b64 exec, exec, s[0:1]
	s_and_saveexec_b64 s[4:5], s[8:9]
	s_cbranch_execz .LBB0_141
.LBB0_128:
	v_sub_u32_e32 v12, 64, v18
	v_lshrrev_b64 v[16:17], v12, v[10:11]
	v_subrev_u32_e32 v12, 32, v18
	v_lshlrev_b64 v[12:13], v12, v[10:11]
	v_mov_b32_e32 v13, 0
	v_mov_b32_e32 v17, v13
	v_lshl_add_u64 v[12:13], v[16:17], 0, v[12:13]
	v_sub_co_u32_e32 v15, vcc, 0, v16
	s_xor_b64 s[0:1], vcc, -1
	v_cmp_ne_u32_e32 vcc, 0, v12
	s_mov_b64 s[8:9], -1
	s_or_b64 s[10:11], s[0:1], vcc
	v_mov_b32_e32 v14, -1
	s_and_saveexec_b64 s[0:1], s[10:11]
	s_cbranch_execz .LBB0_134
; %bb.129:
	s_mov_b64 s[8:9], 0xffffffff
	v_cmp_lt_u64_e32 vcc, s[8:9], v[12:13]
	s_mov_b64 s[10:11], 0
	v_mov_b32_e32 v14, v12
	s_and_saveexec_b64 s[8:9], vcc
	s_cbranch_execz .LBB0_133
; %bb.130:
	v_cmp_ne_u32_e32 vcc, 0, v16
	v_mov_b32_e32 v15, -1
	v_mov_b32_e32 v14, v12
	s_and_saveexec_b64 s[12:13], vcc
; %bb.131:
	s_mov_b64 s[10:11], exec
	v_not_b32_e32 v15, v16
	v_add_u32_e32 v14, 1, v12
; %bb.132:
	s_or_b64 exec, exec, s[12:13]
	s_and_b64 s[10:11], s[10:11], exec
.LBB0_133:
	s_or_b64 exec, exec, s[8:9]
	s_orn2_b64 s[8:9], s[10:11], exec
.LBB0_134:
	s_or_b64 exec, exec, s[0:1]
	s_and_saveexec_b64 s[0:1], s[8:9]
; %bb.135:
	v_mov_b64_e32 v[12:13], v[14:15]
; %bb.136:
	s_or_b64 exec, exec, s[0:1]
	v_sub_u32_e32 v13, 0x60, v18
	v_lshrrev_b64 v[10:11], v13, v[10:11]
	v_cmp_ge_u32_e32 vcc, v15, v10
	v_cmp_ne_u32_e64 s[0:1], 0, v14
	s_or_b64 s[0:1], vcc, s[0:1]
	v_sub_u32_e32 v13, v15, v10
                                        ; implicit-def: $vgpr10_vgpr11
	s_and_saveexec_b64 s[8:9], s[0:1]
	s_xor_b64 s[0:1], exec, s[8:9]
; %bb.137:
	v_mov_b32_e32 v10, 0
	v_mov_b32_e32 v11, v12
; %bb.138:
	s_andn2_saveexec_b64 s[0:1], s[0:1]
; %bb.139:
	v_add_co_u32_e32 v13, vcc, 1, v13
	v_mov_b32_e32 v10, 0
	s_nop 0
	v_cndmask_b32_e64 v11, -2, -1, vcc
; %bb.140:
	s_or_b64 exec, exec, s[0:1]
	v_or_b32_e32 v10, v10, v13
.LBB0_141:
	s_or_b64 exec, exec, s[4:5]
                                        ; implicit-def: $vgpr18
.LBB0_142:
	s_andn2_saveexec_b64 s[0:1], s[2:3]
	s_cbranch_execz .LBB0_154
; %bb.143:
	v_cmp_lt_i32_e32 vcc, 23, v18
	s_mov_b64 s[4:5], 0
	s_and_saveexec_b64 s[2:3], vcc
	s_xor_b64 s[2:3], exec, s[2:3]
	s_cbranch_execnz .LBB0_146
; %bb.144:
	s_andn2_saveexec_b64 s[2:3], s[2:3]
	s_cbranch_execnz .LBB0_147
.LBB0_145:
	s_or_b64 exec, exec, s[2:3]
	s_and_saveexec_b64 s[2:3], s[4:5]
	s_cbranch_execnz .LBB0_148
	s_branch .LBB0_153
.LBB0_146:
	v_cmp_eq_u32_e32 vcc, 24, v18
	s_and_b64 s[4:5], vcc, exec
	s_andn2_saveexec_b64 s[2:3], s[2:3]
	s_cbranch_execz .LBB0_145
.LBB0_147:
	v_cmp_eq_u32_e32 vcc, 12, v18
	s_andn2_b64 s[4:5], s[4:5], exec
	s_and_b64 s[8:9], vcc, exec
	s_or_b64 s[4:5], s[4:5], s[8:9]
	s_or_b64 exec, exec, s[2:3]
	s_and_saveexec_b64 s[2:3], s[4:5]
	s_cbranch_execz .LBB0_153
.LBB0_148:
	v_sub_u32_e32 v12, 64, v18
	v_lshrrev_b64 v[14:15], v12, v[10:11]
	v_sub_u32_e32 v12, 32, v18
	v_lshrrev_b64 v[12:13], v12, v[10:11]
	v_lshlrev_b64 v[18:19], v18, v[10:11]
	v_mov_b32_e32 v13, 0
	v_lshl_add_u64 v[16:17], v[12:13], 0, v[14:15]
	v_sub_co_u32_e32 v12, vcc, v18, v14
	s_xor_b64 s[4:5], vcc, -1
	v_cmp_ne_u32_e32 vcc, 0, v16
	s_mov_b64 s[10:11], -1
	s_or_b64 s[12:13], s[4:5], vcc
	s_mov_b64 s[8:9], 0
	v_mov_b32_e32 v15, -1
                                        ; implicit-def: $vgpr10_vgpr11
	s_and_saveexec_b64 s[4:5], s[12:13]
	s_cbranch_execnz .LBB0_451
; %bb.149:
	s_or_b64 exec, exec, s[4:5]
	v_mov_b64_e32 v[16:17], 0xffffffff
	s_and_saveexec_b64 s[4:5], s[10:11]
	s_cbranch_execnz .LBB0_456
.LBB0_150:
	s_or_b64 exec, exec, s[4:5]
	s_and_saveexec_b64 s[4:5], s[8:9]
.LBB0_151:
	v_or_b32_e32 v17, v15, v17
	v_mov_b64_e32 v[10:11], v[16:17]
.LBB0_152:
	s_or_b64 exec, exec, s[4:5]
.LBB0_153:
	s_or_b64 exec, exec, s[2:3]
.LBB0_154:
	s_or_b64 exec, exec, s[0:1]
	s_mov_b32 s0, 1
	s_mov_b32 s1, -1
	s_mov_b64 s[2:3], 0xffffffff
	v_lshl_add_u64 v[12:13], v[10:11], 0, s[2:3]
	v_cmp_lt_u64_e32 vcc, s[0:1], v[10:11]
	s_nop 1
	v_cndmask_b32_e32 v11, v11, v13, vcc
	v_cndmask_b32_e32 v10, v10, v12, vcc
	v_sub_co_u32_e32 v12, vcc, v6, v8
	ds_write_b64 v1, v[10:11] offset:40
	s_nop 0
	v_subb_co_u32_e32 v13, vcc, v7, v9, vcc
	v_mul_u32_u24_e32 v10, 18, v32
	v_lshl_add_u64 v[14:15], v[12:13], 0, s[0:1]
	v_cmp_lt_u64_e32 vcc, v[6:7], v[8:9]
	s_nop 1
	v_cndmask_b32_e32 v7, v13, v15, vcc
	v_cndmask_b32_e32 v6, v12, v14, vcc
	v_cmp_lt_i32_e32 vcc, 47, v10
	s_and_saveexec_b64 s[0:1], vcc
	s_xor_b64 s[4:5], exec, s[0:1]
	s_cbranch_execz .LBB0_176
; %bb.155:
	s_movk_i32 s0, 0x47
	v_cmp_lt_i32_e32 vcc, s0, v10
	s_and_saveexec_b64 s[0:1], vcc
	s_xor_b64 s[8:9], exec, s[0:1]
	s_cbranch_execz .LBB0_159
; %bb.156:
	s_movk_i32 s0, 0x48
	v_cmp_eq_u32_e32 vcc, s0, v10
	s_and_saveexec_b64 s[10:11], vcc
	s_cbranch_execz .LBB0_158
; %bb.157:
	v_lshrrev_b32_e32 v8, 24, v7
	v_alignbit_b32 v7, v7, v6, 24
	v_lshlrev_b32_e32 v6, 8, v6
	v_sub_u32_e32 v9, 0, v6
	v_sub_co_u32_e32 v7, vcc, v9, v7
	v_cmp_eq_u32_e64 s[0:1], 0, v6
	v_cmp_eq_u32_e64 s[2:3], -1, v7
	s_and_b64 vcc, vcc, s[0:1]
	s_nop 0
	v_cndmask_b32_e64 v9, -2, -1, s[2:3]
	v_cndmask_b32_e32 v6, v6, v9, vcc
	v_addc_co_u32_e32 v7, vcc, 0, v7, vcc
	v_sub_co_u32_e32 v8, vcc, v6, v8
	v_add_u32_e32 v6, -1, v8
	v_add_co_u32_e64 v9, s[0:1], 1, v7
	s_nop 1
	v_cndmask_b32_e64 v10, v6, v8, s[0:1]
	v_cndmask_b32_e32 v6, v7, v9, vcc
	v_cndmask_b32_e32 v7, v8, v10, vcc
.LBB0_158:
	s_or_b64 exec, exec, s[10:11]
                                        ; implicit-def: $vgpr10
.LBB0_159:
	s_andn2_saveexec_b64 s[0:1], s[8:9]
	s_cbranch_execz .LBB0_175
; %bb.160:
	v_cmp_eq_u32_e32 vcc, 48, v10
	s_and_saveexec_b64 s[2:3], vcc
	s_cbranch_execz .LBB0_174
; %bb.161:
	v_mov_b32_e32 v9, 0
	v_alignbit_b32 v10, v7, v6, 16
	v_lshlrev_b32_e32 v8, 16, v6
	v_mov_b32_e32 v11, v9
	v_lshl_add_u64 v[8:9], v[10:11], 0, v[8:9]
	v_sub_co_u32_e32 v11, vcc, 0, v10
	s_xor_b64 s[8:9], vcc, -1
	v_cmp_ne_u32_e32 vcc, 0, v8
	s_mov_b64 s[10:11], -1
	s_or_b64 s[12:13], s[8:9], vcc
	v_mov_b32_e32 v6, -1
	s_and_saveexec_b64 s[8:9], s[12:13]
	s_cbranch_execz .LBB0_167
; %bb.162:
	s_mov_b64 s[10:11], 0xffffffff
	v_cmp_lt_u64_e32 vcc, s[10:11], v[8:9]
	s_mov_b64 s[12:13], 0
	v_mov_b32_e32 v6, v8
	s_and_saveexec_b64 s[10:11], vcc
	s_cbranch_execz .LBB0_166
; %bb.163:
	v_cmp_ne_u32_e32 vcc, 0, v10
	v_mov_b32_e32 v11, -1
	v_mov_b32_e32 v6, v8
	s_and_saveexec_b64 s[14:15], vcc
; %bb.164:
	s_mov_b64 s[12:13], exec
	v_not_b32_e32 v11, v10
	v_add_u32_e32 v6, 1, v8
; %bb.165:
	s_or_b64 exec, exec, s[14:15]
	s_and_b64 s[12:13], s[12:13], exec
.LBB0_166:
	s_or_b64 exec, exec, s[10:11]
	s_orn2_b64 s[10:11], s[12:13], exec
.LBB0_167:
	s_or_b64 exec, exec, s[8:9]
	s_and_saveexec_b64 s[8:9], s[10:11]
; %bb.168:
	v_mov_b64_e32 v[8:9], v[6:7]
; %bb.169:
	s_or_b64 exec, exec, s[8:9]
	v_cmp_ge_u32_sdwa s[8:9], v11, v7 src0_sel:DWORD src1_sel:WORD_1
	v_cmp_ne_u32_e32 vcc, 0, v6
	s_or_b64 s[8:9], s[8:9], vcc
	v_sub_u32_sdwa v9, v11, v7 dst_sel:DWORD dst_unused:UNUSED_PAD src0_sel:DWORD src1_sel:WORD_1
                                        ; implicit-def: $vgpr6_vgpr7
	s_and_saveexec_b64 s[10:11], s[8:9]
	s_xor_b64 s[8:9], exec, s[10:11]
; %bb.170:
	v_mov_b32_e32 v6, 0
	v_mov_b32_e32 v7, v8
; %bb.171:
	s_andn2_saveexec_b64 s[8:9], s[8:9]
; %bb.172:
	v_add_co_u32_e32 v9, vcc, 1, v9
	v_mov_b32_e32 v6, 0
	s_nop 0
	v_cndmask_b32_e64 v7, -2, -1, vcc
; %bb.173:
	s_or_b64 exec, exec, s[8:9]
	v_or_b32_e32 v6, v6, v9
.LBB0_174:
	s_or_b64 exec, exec, s[2:3]
.LBB0_175:
	s_or_b64 exec, exec, s[0:1]
                                        ; implicit-def: $vgpr10
.LBB0_176:
	s_andn2_saveexec_b64 s[0:1], s[4:5]
	s_cbranch_execz .LBB0_184
; %bb.177:
	v_cmp_eq_u32_e32 vcc, 24, v10
	s_and_saveexec_b64 s[2:3], vcc
	s_cbranch_execz .LBB0_183
; %bb.178:
	v_mov_b32_e32 v11, 0
	v_lshrrev_b32_e32 v10, 8, v7
	v_alignbit_b32 v8, v7, v6, 8
	v_mov_b32_e32 v9, v11
	v_lshlrev_b32_e32 v14, 24, v6
	v_lshl_add_u64 v[12:13], v[8:9], 0, v[10:11]
	v_sub_co_u32_e32 v8, vcc, v14, v10
	s_xor_b64 s[4:5], vcc, -1
	v_cmp_ne_u32_e32 vcc, 0, v12
	s_mov_b64 s[10:11], -1
	s_or_b64 s[12:13], s[4:5], vcc
	s_mov_b64 s[8:9], 0
	v_mov_b32_e32 v11, -1
                                        ; implicit-def: $vgpr6_vgpr7
	s_and_saveexec_b64 s[4:5], s[12:13]
	s_cbranch_execnz .LBB0_457
; %bb.179:
	s_or_b64 exec, exec, s[4:5]
	v_mov_b64_e32 v[12:13], 0xffffffff
	s_and_saveexec_b64 s[4:5], s[10:11]
	s_cbranch_execnz .LBB0_462
.LBB0_180:
	s_or_b64 exec, exec, s[4:5]
	s_and_saveexec_b64 s[4:5], s[8:9]
.LBB0_181:
	v_or_b32_e32 v13, v11, v13
	v_mov_b64_e32 v[6:7], v[12:13]
.LBB0_182:
	s_or_b64 exec, exec, s[4:5]
.LBB0_183:
	s_or_b64 exec, exec, s[2:3]
.LBB0_184:
	s_or_b64 exec, exec, s[0:1]
	s_mov_b32 s0, 1
	s_mov_b32 s1, -1
	s_mov_b64 s[2:3], 0xffffffff
	v_lshl_add_u64 v[8:9], v[6:7], 0, s[2:3]
	v_cmp_lt_u64_e32 vcc, s[0:1], v[6:7]
	v_mul_u32_u24_e32 v10, 21, v32
	s_mov_b64 s[4:5], 0
	v_cndmask_b32_e32 v7, v7, v9, vcc
	v_cndmask_b32_e32 v6, v6, v8, vcc
	ds_write_b64 v1, v[6:7] offset:48
	v_sub_co_u32_e32 v6, vcc, v2, v4
	s_nop 1
	v_subb_co_u32_e32 v7, vcc, v3, v5, vcc
	v_lshl_add_u64 v[8:9], v[6:7], 0, s[0:1]
	v_cmp_lt_u64_e32 vcc, v[2:3], v[4:5]
	s_mov_b64 s[0:1], 0
                                        ; implicit-def: $vgpr4_vgpr5
	s_nop 0
	v_cndmask_b32_e32 v3, v7, v9, vcc
	v_cndmask_b32_e32 v2, v6, v8, vcc
	v_cmp_lt_i32_e32 vcc, 47, v10
	s_and_saveexec_b64 s[2:3], vcc
	s_xor_b64 s[8:9], exec, s[2:3]
	s_cbranch_execnz .LBB0_187
; %bb.185:
	s_or_saveexec_b64 s[8:9], s[8:9]
	s_mov_b64 s[2:3], 0
	s_xor_b64 exec, exec, s[8:9]
	s_cbranch_execnz .LBB0_200
.LBB0_186:
	s_or_b64 exec, exec, s[8:9]
	v_sub_u32_e32 v11, 64, v10
	s_and_saveexec_b64 s[8:9], s[0:1]
	s_cbranch_execnz .LBB0_205
	s_branch .LBB0_218
.LBB0_187:
	s_movk_i32 s0, 0x47
	v_cmp_lt_i32_e32 vcc, s0, v10
                                        ; implicit-def: $vgpr4_vgpr5
	s_and_saveexec_b64 s[0:1], vcc
	s_xor_b64 s[10:11], exec, s[0:1]
	s_cbranch_execz .LBB0_193
; %bb.188:
	s_movk_i32 s0, 0x53
	v_cmp_lt_i32_e32 vcc, s0, v10
	s_mov_b64 s[0:1], 0
	s_and_saveexec_b64 s[2:3], vcc
	s_xor_b64 s[2:3], exec, s[2:3]
	s_cbranch_execnz .LBB0_463
; %bb.189:
	s_andn2_saveexec_b64 s[2:3], s[2:3]
	s_cbranch_execnz .LBB0_464
.LBB0_190:
	s_or_b64 exec, exec, s[2:3]
	v_mov_b64_e32 v[4:5], v[2:3]
	s_and_saveexec_b64 s[12:13], s[0:1]
	s_cbranch_execz .LBB0_192
.LBB0_191:
	v_sub_u32_e32 v4, 0x80, v10
	v_lshrrev_b64 v[4:5], v4, v[2:3]
	v_sub_u32_e32 v5, 0x60, v10
	v_lshrrev_b64 v[6:7], v5, v[2:3]
	v_subrev_u32_e32 v5, 64, v10
	v_lshlrev_b64 v[8:9], v5, v[2:3]
	v_sub_u32_e32 v5, 0, v8
	v_sub_co_u32_e32 v5, vcc, v5, v6
	v_cmp_eq_u32_e64 s[0:1], 0, v8
	v_cmp_eq_u32_e64 s[2:3], -1, v5
	s_and_b64 vcc, vcc, s[0:1]
	s_nop 0
	v_cndmask_b32_e64 v6, -2, -1, s[2:3]
	v_cndmask_b32_e32 v6, v8, v6, vcc
	v_addc_co_u32_e32 v5, vcc, 0, v5, vcc
	v_sub_co_u32_e32 v6, vcc, v6, v4
	v_add_u32_e32 v4, -1, v6
	v_add_co_u32_e64 v7, s[0:1], 1, v5
	s_nop 1
	v_cndmask_b32_e64 v8, v4, v6, s[0:1]
	v_cndmask_b32_e32 v4, v5, v7, vcc
	v_cndmask_b32_e32 v5, v6, v8, vcc
.LBB0_192:
	s_or_b64 exec, exec, s[12:13]
.LBB0_193:
	s_or_saveexec_b64 s[0:1], s[10:11]
	s_mov_b64 s[2:3], 0
	s_xor_b64 exec, exec, s[0:1]
	s_cbranch_execz .LBB0_199
; %bb.194:
	v_cmp_lt_i32_e32 vcc, 59, v10
	s_and_saveexec_b64 s[10:11], vcc
	s_xor_b64 s[10:11], exec, s[10:11]
; %bb.195:
	v_cmp_eq_u32_e32 vcc, 60, v10
	s_and_b64 s[2:3], vcc, exec
; %bb.196:
	s_andn2_saveexec_b64 s[10:11], s[10:11]
; %bb.197:
	v_cmp_eq_u32_e32 vcc, 48, v10
	s_andn2_b64 s[2:3], s[2:3], exec
	s_and_b64 s[12:13], vcc, exec
	s_or_b64 s[2:3], s[2:3], s[12:13]
; %bb.198:
	s_or_b64 exec, exec, s[10:11]
	s_and_b64 s[2:3], s[2:3], exec
	v_mov_b64_e32 v[4:5], v[2:3]
.LBB0_199:
	s_or_b64 exec, exec, s[0:1]
	s_and_b64 s[0:1], s[2:3], exec
	s_or_saveexec_b64 s[8:9], s[8:9]
	s_mov_b64 s[2:3], 0
	s_xor_b64 exec, exec, s[8:9]
	s_cbranch_execz .LBB0_186
.LBB0_200:
	v_cmp_lt_i32_e32 vcc, 23, v10
	s_mov_b64 s[10:11], -1
	s_mov_b64 s[12:13], s[0:1]
	s_and_saveexec_b64 s[2:3], vcc
	s_cbranch_execz .LBB0_204
; %bb.201:
	v_cmp_lt_i32_e32 vcc, 35, v10
	s_mov_b64 s[4:5], -1
	s_mov_b64 s[12:13], s[0:1]
	s_and_saveexec_b64 s[10:11], vcc
; %bb.202:
	v_cmp_eq_u32_e32 vcc, 36, v10
	s_andn2_b64 s[12:13], s[0:1], exec
	s_and_b64 s[14:15], vcc, exec
	s_xor_b64 s[4:5], exec, -1
	s_or_b64 s[12:13], s[12:13], s[14:15]
; %bb.203:
	s_or_b64 exec, exec, s[10:11]
	s_andn2_b64 s[14:15], s[0:1], exec
	s_and_b64 s[12:13], s[12:13], exec
	s_xor_b64 s[10:11], exec, -1
	s_and_b64 s[4:5], s[4:5], exec
	s_or_b64 s[12:13], s[14:15], s[12:13]
.LBB0_204:
	s_or_b64 exec, exec, s[2:3]
	s_and_b64 s[2:3], s[10:11], exec
	s_andn2_b64 s[0:1], s[0:1], exec
	s_and_b64 s[10:11], s[12:13], exec
	s_and_b64 s[4:5], s[4:5], exec
	s_or_b64 s[0:1], s[0:1], s[10:11]
	v_mov_b64_e32 v[4:5], v[2:3]
	s_or_b64 exec, exec, s[8:9]
	v_sub_u32_e32 v11, 64, v10
	s_and_saveexec_b64 s[8:9], s[0:1]
	s_cbranch_execz .LBB0_218
.LBB0_205:
	v_subrev_u32_e32 v4, 32, v10
	v_lshlrev_b64 v[4:5], v4, v[2:3]
	v_lshrrev_b64 v[8:9], v11, v[2:3]
	v_mov_b32_e32 v5, 0
	v_mov_b32_e32 v9, v5
	v_lshl_add_u64 v[6:7], v[8:9], 0, v[4:5]
	v_sub_co_u32_e32 v5, vcc, 0, v8
	s_xor_b64 s[0:1], vcc, -1
	v_cmp_ne_u32_e32 vcc, 0, v6
	s_mov_b64 s[10:11], -1
	s_or_b64 s[12:13], s[0:1], vcc
	v_mov_b32_e32 v4, -1
	s_and_saveexec_b64 s[0:1], s[12:13]
	s_cbranch_execz .LBB0_211
; %bb.206:
	s_mov_b64 s[10:11], 0xffffffff
	v_cmp_lt_u64_e32 vcc, s[10:11], v[6:7]
	s_mov_b64 s[12:13], 0
	v_mov_b32_e32 v4, v6
	s_and_saveexec_b64 s[10:11], vcc
	s_cbranch_execz .LBB0_210
; %bb.207:
	v_cmp_ne_u32_e32 vcc, 0, v8
	v_mov_b32_e32 v5, -1
	v_mov_b32_e32 v4, v6
	s_and_saveexec_b64 s[14:15], vcc
; %bb.208:
	s_mov_b64 s[12:13], exec
	v_not_b32_e32 v5, v8
	v_add_u32_e32 v4, 1, v6
; %bb.209:
	s_or_b64 exec, exec, s[14:15]
	s_and_b64 s[12:13], s[12:13], exec
.LBB0_210:
	s_or_b64 exec, exec, s[10:11]
	s_orn2_b64 s[10:11], s[12:13], exec
.LBB0_211:
	s_or_b64 exec, exec, s[0:1]
	s_and_saveexec_b64 s[0:1], s[10:11]
; %bb.212:
	v_mov_b64_e32 v[6:7], v[4:5]
; %bb.213:
	s_or_b64 exec, exec, s[0:1]
	v_sub_u32_e32 v7, 0x60, v10
	v_lshrrev_b64 v[8:9], v7, v[2:3]
	v_cmp_ge_u32_e32 vcc, v5, v8
	v_cmp_ne_u32_e64 s[0:1], 0, v4
	s_or_b64 s[0:1], vcc, s[0:1]
	v_sub_u32_e32 v7, v5, v8
                                        ; implicit-def: $vgpr4_vgpr5
	s_and_saveexec_b64 s[10:11], s[0:1]
	s_xor_b64 s[0:1], exec, s[10:11]
; %bb.214:
	v_mov_b32_e32 v4, 0
	v_mov_b32_e32 v5, v6
; %bb.215:
	s_andn2_saveexec_b64 s[0:1], s[0:1]
; %bb.216:
	v_add_co_u32_e32 v7, vcc, 1, v7
	v_mov_b32_e32 v4, 0
	s_nop 0
	v_cndmask_b32_e64 v5, -2, -1, vcc
; %bb.217:
	s_or_b64 exec, exec, s[0:1]
	v_or_b32_e32 v4, v4, v7
.LBB0_218:
	s_or_b64 exec, exec, s[8:9]
	s_mov_b64 s[8:9], 0
	s_and_saveexec_b64 s[0:1], s[4:5]
	s_xor_b64 s[0:1], exec, s[0:1]
	s_cbranch_execnz .LBB0_221
; %bb.219:
	s_or_b64 exec, exec, s[0:1]
	s_and_saveexec_b64 s[0:1], s[2:3]
	s_cbranch_execnz .LBB0_222
.LBB0_220:
	s_or_b64 exec, exec, s[0:1]
	s_and_saveexec_b64 s[0:1], s[8:9]
	s_cbranch_execnz .LBB0_223
	s_branch .LBB0_228
.LBB0_221:
	v_cmp_eq_u32_e32 vcc, 24, v10
	s_and_b64 s[8:9], vcc, exec
	v_mov_b64_e32 v[4:5], v[2:3]
	s_or_b64 exec, exec, s[0:1]
	s_and_saveexec_b64 s[0:1], s[2:3]
	s_cbranch_execz .LBB0_220
.LBB0_222:
	v_cmp_eq_u32_e32 vcc, 12, v10
	s_andn2_b64 s[2:3], s[8:9], exec
	s_and_b64 s[4:5], vcc, exec
	s_or_b64 s[8:9], s[2:3], s[4:5]
	v_mov_b64_e32 v[4:5], v[2:3]
	s_or_b64 exec, exec, s[0:1]
	s_and_saveexec_b64 s[0:1], s[8:9]
	s_cbranch_execz .LBB0_228
.LBB0_223:
	v_sub_u32_e32 v4, 32, v10
	v_lshrrev_b64 v[4:5], v4, v[2:3]
	v_lshrrev_b64 v[6:7], v11, v[2:3]
	v_lshlrev_b64 v[10:11], v10, v[2:3]
	v_mov_b32_e32 v5, 0
	v_lshl_add_u64 v[8:9], v[4:5], 0, v[6:7]
	v_sub_co_u32_e32 v2, vcc, v10, v6
	s_xor_b64 s[2:3], vcc, -1
	v_cmp_ne_u32_e32 vcc, 0, v8
	s_mov_b64 s[8:9], -1
	s_or_b64 s[10:11], s[2:3], vcc
	s_mov_b64 s[4:5], 0
	v_mov_b32_e32 v7, -1
                                        ; implicit-def: $vgpr4_vgpr5
	s_and_saveexec_b64 s[2:3], s[10:11]
	s_cbranch_execnz .LBB0_445
; %bb.224:
	s_or_b64 exec, exec, s[2:3]
	v_mov_b64_e32 v[8:9], 0xffffffff
	s_and_saveexec_b64 s[2:3], s[8:9]
	s_cbranch_execnz .LBB0_450
.LBB0_225:
	s_or_b64 exec, exec, s[2:3]
	s_and_saveexec_b64 s[2:3], s[4:5]
.LBB0_226:
	v_or_b32_e32 v9, v7, v9
	v_mov_b64_e32 v[4:5], v[8:9]
.LBB0_227:
	s_or_b64 exec, exec, s[2:3]
.LBB0_228:
	s_or_b64 exec, exec, s[0:1]
	s_mov_b32 s0, 1
	s_mov_b32 s1, -1
	s_mov_b64 s[2:3], 0xffffffff
	v_lshl_add_u64 v[2:3], v[4:5], 0, s[2:3]
	v_cmp_lt_u64_e32 vcc, s[0:1], v[4:5]
	v_and_b32_e32 v28, 0x1c0, v34
	v_and_b32_e32 v29, 7, v0
	v_cndmask_b32_e32 v3, v5, v3, vcc
	v_cndmask_b32_e32 v2, v4, v2, vcc
	ds_write_b64 v1, v[2:3] offset:56
	v_or_b32_e32 v1, v29, v28
	v_lshlrev_b32_e32 v1, 3, v1
	s_waitcnt lgkmcnt(0)
	s_barrier
	ds_read2_b64 v[14:17], v1 offset1:8
	ds_read2_b64 v[10:13], v1 offset0:16 offset1:24
	ds_read2_b64 v[6:9], v1 offset0:32 offset1:40
	;; [unrolled: 1-line block ×3, first 2 shown]
	s_mov_b32 s4, 0
	s_waitcnt lgkmcnt(3)
	v_lshl_add_u64 v[18:19], v[16:17], 0, v[14:15]
	v_lshl_add_u64 v[20:21], v[18:19], 0, s[2:3]
	v_cmp_lt_u64_e32 vcc, v[18:19], v[16:17]
	s_mov_b32 s5, s1
	v_mov_b32_e32 v26, 0
	v_cndmask_b32_e32 v19, v19, v21, vcc
	v_cndmask_b32_e32 v18, v18, v20, vcc
	v_lshl_add_u64 v[20:21], v[18:19], 0, s[2:3]
	v_cmp_lt_u64_e32 vcc, s[4:5], v[18:19]
	s_nop 1
	v_cndmask_b32_e32 v19, v19, v21, vcc
	v_cndmask_b32_e32 v18, v18, v20, vcc
	v_lshl_add_u64 v[20:21], v[18:19], 0, s[2:3]
	v_cmp_lt_u64_e32 vcc, s[4:5], v[18:19]
	s_nop 1
	v_cndmask_b32_e32 v21, v19, v21, vcc
	v_cndmask_b32_e32 v20, v18, v20, vcc
	v_cmp_ne_u64_e32 vcc, 0, v[20:21]
	s_and_saveexec_b64 s[4:5], vcc
	s_cbranch_execz .LBB0_255
; %bb.229:
	s_mov_b32 s8, 0x10001
	s_mov_b32 s9, 0xfffeffff
	v_mov_b32_e32 v1, 0xfffeffff
	v_cmp_gt_u64_e32 vcc, s[8:9], v[20:21]
	v_mov_b32_e32 v22, 0x10001
	v_mov_b64_e32 v[26:27], 0
	v_cndmask_b32_e32 v19, v1, v21, vcc
	v_cndmask_b32_e32 v18, v22, v20, vcc
	v_cmp_lt_u64_e32 vcc, s[8:9], v[20:21]
	s_movk_i32 s14, 0xffc0
	s_mov_b64 s[8:9], 60
	v_cndmask_b32_e32 v21, v1, v21, vcc
	v_cndmask_b32_e32 v20, v22, v20, vcc
	v_not_b32_e32 v23, v21
	v_not_b32_e32 v22, v20
	v_lshl_add_u64 v[24:25], v[20:21], 0, s[2:3]
	s_branch .LBB0_232
.LBB0_230:                              ;   in Loop: Header=BB0_232 Depth=1
	s_or_b64 exec, exec, s[12:13]
.LBB0_231:                              ;   in Loop: Header=BB0_232 Depth=1
	s_or_b64 exec, exec, s[10:11]
	s_add_i32 s14, s14, 4
	s_add_u32 s8, s8, -4
	v_lshl_add_u64 v[30:31], v[26:27], 0, s[2:3]
	v_cmp_gt_u64_e32 vcc, s[0:1], v[26:27]
	s_addc_u32 s9, s9, -1
	s_cmp_lg_u32 s14, 0
	v_cndmask_b32_e32 v27, v31, v27, vcc
	v_cndmask_b32_e32 v26, v30, v26, vcc
	s_cbranch_scc0 .LBB0_255
.LBB0_232:                              ; =>This Inner Loop Header: Depth=1
	v_lshlrev_b64 v[30:31], 1, v[26:27]
	v_lshl_add_u64 v[32:33], v[30:31], 0, s[2:3]
	v_cmp_gt_i64_e32 vcc, 0, v[26:27]
	s_add_i32 s10, s8, 3
	s_nop 0
	v_cndmask_b32_e32 v27, v31, v33, vcc
	v_cndmask_b32_e32 v26, v30, v32, vcc
	v_lshrrev_b64 v[30:31], s10, v[18:19]
	v_and_b32_e32 v1, 1, v30
	v_cmp_eq_u32_e32 vcc, 1, v1
	s_and_saveexec_b64 s[10:11], vcc
	s_cbranch_execz .LBB0_238
; %bb.233:                              ;   in Loop: Header=BB0_232 Depth=1
	v_cmp_le_u64_e32 vcc, v[26:27], v[22:23]
	s_and_saveexec_b64 s[12:13], vcc
	s_xor_b64 s[12:13], exec, s[12:13]
; %bb.234:                              ;   in Loop: Header=BB0_232 Depth=1
	v_lshl_add_u64 v[26:27], v[26:27], 0, v[20:21]
; %bb.235:                              ;   in Loop: Header=BB0_232 Depth=1
	s_andn2_saveexec_b64 s[12:13], s[12:13]
; %bb.236:                              ;   in Loop: Header=BB0_232 Depth=1
	v_lshl_add_u64 v[26:27], v[24:25], 0, v[26:27]
; %bb.237:                              ;   in Loop: Header=BB0_232 Depth=1
	s_or_b64 exec, exec, s[12:13]
.LBB0_238:                              ;   in Loop: Header=BB0_232 Depth=1
	s_or_b64 exec, exec, s[10:11]
	v_lshl_add_u64 v[30:31], v[26:27], 0, s[2:3]
	v_cmp_gt_u64_e32 vcc, s[0:1], v[26:27]
	s_add_i32 s10, s8, 2
	s_nop 0
	v_cndmask_b32_e32 v27, v31, v27, vcc
	v_cndmask_b32_e32 v26, v30, v26, vcc
	v_lshlrev_b64 v[30:31], 1, v[26:27]
	v_lshl_add_u64 v[32:33], v[30:31], 0, s[2:3]
	v_cmp_gt_i64_e32 vcc, 0, v[26:27]
	s_nop 1
	v_cndmask_b32_e32 v27, v31, v33, vcc
	v_cndmask_b32_e32 v26, v30, v32, vcc
	v_lshrrev_b64 v[30:31], s10, v[18:19]
	v_and_b32_e32 v1, 1, v30
	v_cmp_eq_u32_e32 vcc, 1, v1
	s_and_saveexec_b64 s[10:11], vcc
	s_cbranch_execz .LBB0_244
; %bb.239:                              ;   in Loop: Header=BB0_232 Depth=1
	v_cmp_le_u64_e32 vcc, v[26:27], v[22:23]
	s_and_saveexec_b64 s[12:13], vcc
	s_xor_b64 s[12:13], exec, s[12:13]
; %bb.240:                              ;   in Loop: Header=BB0_232 Depth=1
	v_lshl_add_u64 v[26:27], v[26:27], 0, v[20:21]
; %bb.241:                              ;   in Loop: Header=BB0_232 Depth=1
	s_andn2_saveexec_b64 s[12:13], s[12:13]
; %bb.242:                              ;   in Loop: Header=BB0_232 Depth=1
	v_lshl_add_u64 v[26:27], v[24:25], 0, v[26:27]
; %bb.243:                              ;   in Loop: Header=BB0_232 Depth=1
	s_or_b64 exec, exec, s[12:13]
.LBB0_244:                              ;   in Loop: Header=BB0_232 Depth=1
	s_or_b64 exec, exec, s[10:11]
	v_lshl_add_u64 v[30:31], v[26:27], 0, s[2:3]
	v_cmp_gt_u64_e32 vcc, s[0:1], v[26:27]
	s_add_i32 s10, s8, 1
	s_nop 0
	v_cndmask_b32_e32 v27, v31, v27, vcc
	v_cndmask_b32_e32 v26, v30, v26, vcc
	v_lshlrev_b64 v[30:31], 1, v[26:27]
	v_lshl_add_u64 v[32:33], v[30:31], 0, s[2:3]
	v_cmp_gt_i64_e32 vcc, 0, v[26:27]
	s_nop 1
	v_cndmask_b32_e32 v27, v31, v33, vcc
	v_cndmask_b32_e32 v26, v30, v32, vcc
	v_lshrrev_b64 v[30:31], s10, v[18:19]
	v_and_b32_e32 v1, 1, v30
	v_cmp_eq_u32_e32 vcc, 1, v1
	s_and_saveexec_b64 s[10:11], vcc
	s_cbranch_execz .LBB0_250
; %bb.245:                              ;   in Loop: Header=BB0_232 Depth=1
	v_cmp_le_u64_e32 vcc, v[26:27], v[22:23]
	s_and_saveexec_b64 s[12:13], vcc
	s_xor_b64 s[12:13], exec, s[12:13]
; %bb.246:                              ;   in Loop: Header=BB0_232 Depth=1
	v_lshl_add_u64 v[26:27], v[26:27], 0, v[20:21]
; %bb.247:                              ;   in Loop: Header=BB0_232 Depth=1
	s_andn2_saveexec_b64 s[12:13], s[12:13]
; %bb.248:                              ;   in Loop: Header=BB0_232 Depth=1
	v_lshl_add_u64 v[26:27], v[24:25], 0, v[26:27]
; %bb.249:                              ;   in Loop: Header=BB0_232 Depth=1
	s_or_b64 exec, exec, s[12:13]
.LBB0_250:                              ;   in Loop: Header=BB0_232 Depth=1
	s_or_b64 exec, exec, s[10:11]
	v_lshl_add_u64 v[30:31], v[26:27], 0, s[2:3]
	v_cmp_gt_u64_e32 vcc, s[0:1], v[26:27]
	s_nop 1
	v_cndmask_b32_e32 v27, v31, v27, vcc
	v_cndmask_b32_e32 v26, v30, v26, vcc
	v_lshlrev_b64 v[30:31], 1, v[26:27]
	v_lshl_add_u64 v[32:33], v[30:31], 0, s[2:3]
	v_cmp_gt_i64_e32 vcc, 0, v[26:27]
	s_nop 1
	v_cndmask_b32_e32 v27, v31, v33, vcc
	v_cndmask_b32_e32 v26, v30, v32, vcc
	v_lshrrev_b64 v[30:31], s8, v[18:19]
	v_and_b32_e32 v1, 1, v30
	v_cmp_eq_u32_e32 vcc, 1, v1
	s_and_saveexec_b64 s[10:11], vcc
	s_cbranch_execz .LBB0_231
; %bb.251:                              ;   in Loop: Header=BB0_232 Depth=1
	v_cmp_le_u64_e32 vcc, v[26:27], v[22:23]
	s_and_saveexec_b64 s[12:13], vcc
	s_xor_b64 s[12:13], exec, s[12:13]
; %bb.252:                              ;   in Loop: Header=BB0_232 Depth=1
	v_lshl_add_u64 v[26:27], v[26:27], 0, v[20:21]
; %bb.253:                              ;   in Loop: Header=BB0_232 Depth=1
	s_andn2_saveexec_b64 s[12:13], s[12:13]
	s_cbranch_execz .LBB0_230
; %bb.254:                              ;   in Loop: Header=BB0_232 Depth=1
	v_lshl_add_u64 v[26:27], v[24:25], 0, v[26:27]
	s_branch .LBB0_230
.LBB0_255:
	s_or_b64 exec, exec, s[4:5]
	v_sub_co_u32_e32 v18, vcc, v14, v16
	s_mov_b32 s0, 1
	s_nop 0
	v_subb_co_u32_e32 v19, vcc, v15, v17, vcc
	v_or_b32_e32 v1, s22, v28
	s_mov_b32 s1, -1
	v_cmp_lt_u64_e32 vcc, v[14:15], v[16:17]
	v_lshlrev_b32_e32 v16, 12, v29
	v_lshrrev_b32_e32 v1, 4, v1
	v_lshl_add_u64 v[20:21], v[18:19], 0, s[0:1]
	v_or_b32_e32 v24, v16, v1
	v_cndmask_b32_e32 v15, v19, v21, vcc
	v_cndmask_b32_e32 v14, v18, v20, vcc
	v_lshlrev_b32_e32 v16, 2, v24
	s_mov_b32 s4, 0
	s_mov_b32 s5, s1
	s_mov_b64 s[2:3], 0xffffffff
	global_store_dword v16, v26, s[6:7]
	v_lshl_add_u64 v[16:17], v[14:15], 0, s[2:3]
	v_cmp_lt_u64_e32 vcc, s[4:5], v[14:15]
	v_mov_b32_e32 v22, 0
	s_nop 0
	v_cndmask_b32_e32 v17, v15, v17, vcc
	v_cndmask_b32_e32 v16, v14, v16, vcc
	v_cmp_ne_u64_e32 vcc, 0, v[16:17]
	s_and_saveexec_b64 s[4:5], vcc
	s_cbranch_execz .LBB0_282
; %bb.256:
	s_mov_b32 s8, 0x10001
	s_mov_b32 s9, 0xfffeffff
	v_mov_b32_e32 v18, 0xfffeffff
	v_cmp_gt_u64_e32 vcc, s[8:9], v[16:17]
	v_mov_b32_e32 v19, 0x10001
	v_mov_b64_e32 v[22:23], 0
	v_cndmask_b32_e32 v15, v18, v17, vcc
	v_cndmask_b32_e32 v14, v19, v16, vcc
	v_cmp_lt_u64_e32 vcc, s[8:9], v[16:17]
	s_movk_i32 s14, 0xffc0
	s_mov_b64 s[8:9], 60
	v_cndmask_b32_e32 v17, v18, v17, vcc
	v_cndmask_b32_e32 v16, v19, v16, vcc
	v_not_b32_e32 v19, v17
	v_not_b32_e32 v18, v16
	v_lshl_add_u64 v[20:21], v[16:17], 0, s[2:3]
	s_branch .LBB0_259
.LBB0_257:                              ;   in Loop: Header=BB0_259 Depth=1
	s_or_b64 exec, exec, s[12:13]
.LBB0_258:                              ;   in Loop: Header=BB0_259 Depth=1
	s_or_b64 exec, exec, s[10:11]
	s_add_i32 s14, s14, 4
	s_add_u32 s8, s8, -4
	v_lshl_add_u64 v[26:27], v[22:23], 0, s[2:3]
	v_cmp_gt_u64_e32 vcc, s[0:1], v[22:23]
	s_addc_u32 s9, s9, -1
	s_cmp_lg_u32 s14, 0
	v_cndmask_b32_e32 v23, v27, v23, vcc
	v_cndmask_b32_e32 v22, v26, v22, vcc
	s_cbranch_scc0 .LBB0_282
.LBB0_259:                              ; =>This Inner Loop Header: Depth=1
	v_lshlrev_b64 v[26:27], 1, v[22:23]
	v_lshl_add_u64 v[28:29], v[26:27], 0, s[2:3]
	v_cmp_gt_i64_e32 vcc, 0, v[22:23]
	s_add_i32 s10, s8, 3
	s_nop 0
	v_cndmask_b32_e32 v23, v27, v29, vcc
	v_cndmask_b32_e32 v22, v26, v28, vcc
	v_lshrrev_b64 v[26:27], s10, v[14:15]
	v_and_b32_e32 v25, 1, v26
	v_cmp_eq_u32_e32 vcc, 1, v25
	s_and_saveexec_b64 s[10:11], vcc
	s_cbranch_execz .LBB0_265
; %bb.260:                              ;   in Loop: Header=BB0_259 Depth=1
	v_cmp_le_u64_e32 vcc, v[22:23], v[18:19]
	s_and_saveexec_b64 s[12:13], vcc
	s_xor_b64 s[12:13], exec, s[12:13]
; %bb.261:                              ;   in Loop: Header=BB0_259 Depth=1
	v_lshl_add_u64 v[22:23], v[22:23], 0, v[16:17]
; %bb.262:                              ;   in Loop: Header=BB0_259 Depth=1
	s_andn2_saveexec_b64 s[12:13], s[12:13]
; %bb.263:                              ;   in Loop: Header=BB0_259 Depth=1
	v_lshl_add_u64 v[22:23], v[20:21], 0, v[22:23]
; %bb.264:                              ;   in Loop: Header=BB0_259 Depth=1
	s_or_b64 exec, exec, s[12:13]
.LBB0_265:                              ;   in Loop: Header=BB0_259 Depth=1
	s_or_b64 exec, exec, s[10:11]
	v_lshl_add_u64 v[26:27], v[22:23], 0, s[2:3]
	v_cmp_gt_u64_e32 vcc, s[0:1], v[22:23]
	s_add_i32 s10, s8, 2
	s_nop 0
	v_cndmask_b32_e32 v23, v27, v23, vcc
	v_cndmask_b32_e32 v22, v26, v22, vcc
	v_lshlrev_b64 v[26:27], 1, v[22:23]
	v_lshl_add_u64 v[28:29], v[26:27], 0, s[2:3]
	v_cmp_gt_i64_e32 vcc, 0, v[22:23]
	s_nop 1
	v_cndmask_b32_e32 v23, v27, v29, vcc
	v_cndmask_b32_e32 v22, v26, v28, vcc
	v_lshrrev_b64 v[26:27], s10, v[14:15]
	v_and_b32_e32 v25, 1, v26
	v_cmp_eq_u32_e32 vcc, 1, v25
	s_and_saveexec_b64 s[10:11], vcc
	s_cbranch_execz .LBB0_271
; %bb.266:                              ;   in Loop: Header=BB0_259 Depth=1
	v_cmp_le_u64_e32 vcc, v[22:23], v[18:19]
	s_and_saveexec_b64 s[12:13], vcc
	s_xor_b64 s[12:13], exec, s[12:13]
; %bb.267:                              ;   in Loop: Header=BB0_259 Depth=1
	v_lshl_add_u64 v[22:23], v[22:23], 0, v[16:17]
; %bb.268:                              ;   in Loop: Header=BB0_259 Depth=1
	s_andn2_saveexec_b64 s[12:13], s[12:13]
; %bb.269:                              ;   in Loop: Header=BB0_259 Depth=1
	v_lshl_add_u64 v[22:23], v[20:21], 0, v[22:23]
; %bb.270:                              ;   in Loop: Header=BB0_259 Depth=1
	s_or_b64 exec, exec, s[12:13]
.LBB0_271:                              ;   in Loop: Header=BB0_259 Depth=1
	s_or_b64 exec, exec, s[10:11]
	v_lshl_add_u64 v[26:27], v[22:23], 0, s[2:3]
	v_cmp_gt_u64_e32 vcc, s[0:1], v[22:23]
	s_add_i32 s10, s8, 1
	s_nop 0
	v_cndmask_b32_e32 v23, v27, v23, vcc
	v_cndmask_b32_e32 v22, v26, v22, vcc
	v_lshlrev_b64 v[26:27], 1, v[22:23]
	v_lshl_add_u64 v[28:29], v[26:27], 0, s[2:3]
	v_cmp_gt_i64_e32 vcc, 0, v[22:23]
	s_nop 1
	v_cndmask_b32_e32 v23, v27, v29, vcc
	v_cndmask_b32_e32 v22, v26, v28, vcc
	v_lshrrev_b64 v[26:27], s10, v[14:15]
	v_and_b32_e32 v25, 1, v26
	v_cmp_eq_u32_e32 vcc, 1, v25
	s_and_saveexec_b64 s[10:11], vcc
	s_cbranch_execz .LBB0_277
; %bb.272:                              ;   in Loop: Header=BB0_259 Depth=1
	v_cmp_le_u64_e32 vcc, v[22:23], v[18:19]
	s_and_saveexec_b64 s[12:13], vcc
	s_xor_b64 s[12:13], exec, s[12:13]
; %bb.273:                              ;   in Loop: Header=BB0_259 Depth=1
	v_lshl_add_u64 v[22:23], v[22:23], 0, v[16:17]
; %bb.274:                              ;   in Loop: Header=BB0_259 Depth=1
	s_andn2_saveexec_b64 s[12:13], s[12:13]
; %bb.275:                              ;   in Loop: Header=BB0_259 Depth=1
	v_lshl_add_u64 v[22:23], v[20:21], 0, v[22:23]
; %bb.276:                              ;   in Loop: Header=BB0_259 Depth=1
	s_or_b64 exec, exec, s[12:13]
.LBB0_277:                              ;   in Loop: Header=BB0_259 Depth=1
	s_or_b64 exec, exec, s[10:11]
	v_lshl_add_u64 v[26:27], v[22:23], 0, s[2:3]
	v_cmp_gt_u64_e32 vcc, s[0:1], v[22:23]
	s_nop 1
	v_cndmask_b32_e32 v23, v27, v23, vcc
	v_cndmask_b32_e32 v22, v26, v22, vcc
	v_lshlrev_b64 v[26:27], 1, v[22:23]
	v_lshl_add_u64 v[28:29], v[26:27], 0, s[2:3]
	v_cmp_gt_i64_e32 vcc, 0, v[22:23]
	s_nop 1
	v_cndmask_b32_e32 v23, v27, v29, vcc
	v_cndmask_b32_e32 v22, v26, v28, vcc
	v_lshrrev_b64 v[26:27], s8, v[14:15]
	v_and_b32_e32 v25, 1, v26
	v_cmp_eq_u32_e32 vcc, 1, v25
	s_and_saveexec_b64 s[10:11], vcc
	s_cbranch_execz .LBB0_258
; %bb.278:                              ;   in Loop: Header=BB0_259 Depth=1
	v_cmp_le_u64_e32 vcc, v[22:23], v[18:19]
	s_and_saveexec_b64 s[12:13], vcc
	s_xor_b64 s[12:13], exec, s[12:13]
; %bb.279:                              ;   in Loop: Header=BB0_259 Depth=1
	v_lshl_add_u64 v[22:23], v[22:23], 0, v[16:17]
; %bb.280:                              ;   in Loop: Header=BB0_259 Depth=1
	s_andn2_saveexec_b64 s[12:13], s[12:13]
	s_cbranch_execz .LBB0_257
; %bb.281:                              ;   in Loop: Header=BB0_259 Depth=1
	v_lshl_add_u64 v[22:23], v[20:21], 0, v[22:23]
	s_branch .LBB0_257
.LBB0_282:
	s_or_b64 exec, exec, s[4:5]
	s_waitcnt lgkmcnt(2)
	v_lshl_add_u64 v[14:15], v[12:13], 0, v[10:11]
	s_mov_b64 s[0:1], 0xffffffff
	v_lshl_add_u64 v[16:17], v[14:15], 0, s[0:1]
	v_cmp_lt_u64_e32 vcc, v[14:15], v[12:13]
	s_mov_b32 s3, -1
	s_mov_b32 s2, 0
	v_cndmask_b32_e32 v15, v15, v17, vcc
	v_cndmask_b32_e32 v14, v14, v16, vcc
	v_lshlrev_b32_e32 v0, 12, v0
	s_movk_i32 s4, 0x7000
	v_lshl_add_u64 v[16:17], v[14:15], 0, s[0:1]
	v_cmp_lt_u64_e32 vcc, s[2:3], v[14:15]
	v_and_or_b32 v23, v0, s4, v1
	v_mov_b32_e32 v0, 0x20000
	v_cndmask_b32_e32 v15, v15, v17, vcc
	v_cndmask_b32_e32 v14, v14, v16, vcc
	v_lshl_or_b32 v0, v23, 2, v0
	global_store_dword v0, v22, s[6:7]
	v_lshl_add_u64 v[0:1], v[14:15], 0, s[0:1]
	v_cmp_lt_u64_e32 vcc, s[2:3], v[14:15]
	v_mov_b32_e32 v20, 0
	s_nop 0
	v_cndmask_b32_e32 v15, v15, v1, vcc
	v_cndmask_b32_e32 v14, v14, v0, vcc
	v_cmp_ne_u64_e32 vcc, 0, v[14:15]
	s_and_saveexec_b64 s[4:5], vcc
	s_cbranch_execz .LBB0_309
; %bb.283:
	s_mov_b32 s8, 0x10001
	s_mov_b32 s9, 0xfffeffff
	v_mov_b32_e32 v16, 0xfffeffff
	v_cmp_gt_u64_e32 vcc, s[8:9], v[14:15]
	v_mov_b32_e32 v17, 0x10001
	v_mov_b64_e32 v[20:21], 0
	v_cndmask_b32_e32 v1, v16, v15, vcc
	v_cndmask_b32_e32 v0, v17, v14, vcc
	v_cmp_lt_u64_e32 vcc, s[8:9], v[14:15]
	s_movk_i32 s14, 0xffc0
	s_mov_b64 s[8:9], 60
	v_cndmask_b32_e32 v15, v16, v15, vcc
	v_cndmask_b32_e32 v14, v17, v14, vcc
	v_not_b32_e32 v17, v15
	v_not_b32_e32 v16, v14
	v_lshl_add_u64 v[18:19], v[14:15], 0, s[0:1]
	s_mov_b32 s2, 1
	s_branch .LBB0_286
.LBB0_284:                              ;   in Loop: Header=BB0_286 Depth=1
	s_or_b64 exec, exec, s[12:13]
.LBB0_285:                              ;   in Loop: Header=BB0_286 Depth=1
	s_or_b64 exec, exec, s[10:11]
	s_add_i32 s14, s14, 4
	s_add_u32 s8, s8, -4
	v_lshl_add_u64 v[26:27], v[20:21], 0, s[0:1]
	v_cmp_gt_u64_e32 vcc, s[2:3], v[20:21]
	s_addc_u32 s9, s9, -1
	s_cmp_lg_u32 s14, 0
	v_cndmask_b32_e32 v21, v27, v21, vcc
	v_cndmask_b32_e32 v20, v26, v20, vcc
	s_cbranch_scc0 .LBB0_309
.LBB0_286:                              ; =>This Inner Loop Header: Depth=1
	v_lshlrev_b64 v[26:27], 1, v[20:21]
	v_lshl_add_u64 v[28:29], v[26:27], 0, s[0:1]
	v_cmp_gt_i64_e32 vcc, 0, v[20:21]
	s_add_i32 s10, s8, 3
	s_nop 0
	v_cndmask_b32_e32 v21, v27, v29, vcc
	v_cndmask_b32_e32 v20, v26, v28, vcc
	v_lshrrev_b64 v[26:27], s10, v[0:1]
	v_and_b32_e32 v22, 1, v26
	v_cmp_eq_u32_e32 vcc, 1, v22
	s_and_saveexec_b64 s[10:11], vcc
	s_cbranch_execz .LBB0_292
; %bb.287:                              ;   in Loop: Header=BB0_286 Depth=1
	v_cmp_le_u64_e32 vcc, v[20:21], v[16:17]
	s_and_saveexec_b64 s[12:13], vcc
	s_xor_b64 s[12:13], exec, s[12:13]
; %bb.288:                              ;   in Loop: Header=BB0_286 Depth=1
	v_lshl_add_u64 v[20:21], v[20:21], 0, v[14:15]
; %bb.289:                              ;   in Loop: Header=BB0_286 Depth=1
	s_andn2_saveexec_b64 s[12:13], s[12:13]
; %bb.290:                              ;   in Loop: Header=BB0_286 Depth=1
	v_lshl_add_u64 v[20:21], v[18:19], 0, v[20:21]
; %bb.291:                              ;   in Loop: Header=BB0_286 Depth=1
	s_or_b64 exec, exec, s[12:13]
.LBB0_292:                              ;   in Loop: Header=BB0_286 Depth=1
	s_or_b64 exec, exec, s[10:11]
	v_lshl_add_u64 v[26:27], v[20:21], 0, s[0:1]
	v_cmp_gt_u64_e32 vcc, s[2:3], v[20:21]
	s_add_i32 s10, s8, 2
	s_nop 0
	v_cndmask_b32_e32 v21, v27, v21, vcc
	v_cndmask_b32_e32 v20, v26, v20, vcc
	v_lshlrev_b64 v[26:27], 1, v[20:21]
	v_lshl_add_u64 v[28:29], v[26:27], 0, s[0:1]
	v_cmp_gt_i64_e32 vcc, 0, v[20:21]
	s_nop 1
	v_cndmask_b32_e32 v21, v27, v29, vcc
	v_cndmask_b32_e32 v20, v26, v28, vcc
	v_lshrrev_b64 v[26:27], s10, v[0:1]
	v_and_b32_e32 v22, 1, v26
	v_cmp_eq_u32_e32 vcc, 1, v22
	s_and_saveexec_b64 s[10:11], vcc
	s_cbranch_execz .LBB0_298
; %bb.293:                              ;   in Loop: Header=BB0_286 Depth=1
	v_cmp_le_u64_e32 vcc, v[20:21], v[16:17]
	s_and_saveexec_b64 s[12:13], vcc
	s_xor_b64 s[12:13], exec, s[12:13]
; %bb.294:                              ;   in Loop: Header=BB0_286 Depth=1
	v_lshl_add_u64 v[20:21], v[20:21], 0, v[14:15]
; %bb.295:                              ;   in Loop: Header=BB0_286 Depth=1
	s_andn2_saveexec_b64 s[12:13], s[12:13]
; %bb.296:                              ;   in Loop: Header=BB0_286 Depth=1
	v_lshl_add_u64 v[20:21], v[18:19], 0, v[20:21]
; %bb.297:                              ;   in Loop: Header=BB0_286 Depth=1
	s_or_b64 exec, exec, s[12:13]
.LBB0_298:                              ;   in Loop: Header=BB0_286 Depth=1
	s_or_b64 exec, exec, s[10:11]
	v_lshl_add_u64 v[26:27], v[20:21], 0, s[0:1]
	v_cmp_gt_u64_e32 vcc, s[2:3], v[20:21]
	s_add_i32 s10, s8, 1
	s_nop 0
	v_cndmask_b32_e32 v21, v27, v21, vcc
	v_cndmask_b32_e32 v20, v26, v20, vcc
	v_lshlrev_b64 v[26:27], 1, v[20:21]
	v_lshl_add_u64 v[28:29], v[26:27], 0, s[0:1]
	v_cmp_gt_i64_e32 vcc, 0, v[20:21]
	s_nop 1
	v_cndmask_b32_e32 v21, v27, v29, vcc
	v_cndmask_b32_e32 v20, v26, v28, vcc
	v_lshrrev_b64 v[26:27], s10, v[0:1]
	v_and_b32_e32 v22, 1, v26
	v_cmp_eq_u32_e32 vcc, 1, v22
	s_and_saveexec_b64 s[10:11], vcc
	s_cbranch_execz .LBB0_304
; %bb.299:                              ;   in Loop: Header=BB0_286 Depth=1
	v_cmp_le_u64_e32 vcc, v[20:21], v[16:17]
	s_and_saveexec_b64 s[12:13], vcc
	s_xor_b64 s[12:13], exec, s[12:13]
; %bb.300:                              ;   in Loop: Header=BB0_286 Depth=1
	v_lshl_add_u64 v[20:21], v[20:21], 0, v[14:15]
; %bb.301:                              ;   in Loop: Header=BB0_286 Depth=1
	s_andn2_saveexec_b64 s[12:13], s[12:13]
; %bb.302:                              ;   in Loop: Header=BB0_286 Depth=1
	v_lshl_add_u64 v[20:21], v[18:19], 0, v[20:21]
; %bb.303:                              ;   in Loop: Header=BB0_286 Depth=1
	s_or_b64 exec, exec, s[12:13]
.LBB0_304:                              ;   in Loop: Header=BB0_286 Depth=1
	s_or_b64 exec, exec, s[10:11]
	v_lshl_add_u64 v[26:27], v[20:21], 0, s[0:1]
	v_cmp_gt_u64_e32 vcc, s[2:3], v[20:21]
	s_nop 1
	v_cndmask_b32_e32 v21, v27, v21, vcc
	v_cndmask_b32_e32 v20, v26, v20, vcc
	v_lshlrev_b64 v[26:27], 1, v[20:21]
	v_lshl_add_u64 v[28:29], v[26:27], 0, s[0:1]
	v_cmp_gt_i64_e32 vcc, 0, v[20:21]
	s_nop 1
	v_cndmask_b32_e32 v21, v27, v29, vcc
	v_cndmask_b32_e32 v20, v26, v28, vcc
	v_lshrrev_b64 v[26:27], s8, v[0:1]
	v_and_b32_e32 v22, 1, v26
	v_cmp_eq_u32_e32 vcc, 1, v22
	s_and_saveexec_b64 s[10:11], vcc
	s_cbranch_execz .LBB0_285
; %bb.305:                              ;   in Loop: Header=BB0_286 Depth=1
	v_cmp_le_u64_e32 vcc, v[20:21], v[16:17]
	s_and_saveexec_b64 s[12:13], vcc
	s_xor_b64 s[12:13], exec, s[12:13]
; %bb.306:                              ;   in Loop: Header=BB0_286 Depth=1
	v_lshl_add_u64 v[20:21], v[20:21], 0, v[14:15]
; %bb.307:                              ;   in Loop: Header=BB0_286 Depth=1
	s_andn2_saveexec_b64 s[12:13], s[12:13]
	s_cbranch_execz .LBB0_284
; %bb.308:                              ;   in Loop: Header=BB0_286 Depth=1
	v_lshl_add_u64 v[20:21], v[18:19], 0, v[20:21]
	s_branch .LBB0_284
.LBB0_309:
	s_or_b64 exec, exec, s[4:5]
	v_sub_co_u32_e32 v0, vcc, v10, v12
	s_mov_b32 s0, 1
	s_nop 0
	v_subb_co_u32_e32 v1, vcc, v11, v13, vcc
	s_mov_b32 s1, -1
	v_lshl_add_u64 v[14:15], v[0:1], 0, s[0:1]
	v_cmp_lt_u64_e32 vcc, v[10:11], v[12:13]
	v_lshl_or_b32 v10, v24, 2, 4
	s_mov_b32 s4, 0
	v_cndmask_b32_e32 v1, v1, v15, vcc
	v_cndmask_b32_e32 v0, v0, v14, vcc
	s_mov_b32 s5, s1
	s_mov_b64 s[2:3], 0xffffffff
	global_store_dword v10, v20, s[6:7]
	v_lshl_add_u64 v[10:11], v[0:1], 0, s[2:3]
	v_cmp_lt_u64_e32 vcc, s[4:5], v[0:1]
	v_mov_b32_e32 v16, 0
	s_nop 0
	v_cndmask_b32_e32 v11, v1, v11, vcc
	v_cndmask_b32_e32 v10, v0, v10, vcc
	v_cmp_ne_u64_e32 vcc, 0, v[10:11]
	s_and_saveexec_b64 s[4:5], vcc
	s_cbranch_execz .LBB0_336
; %bb.310:
	s_mov_b32 s8, 0x10001
	s_mov_b32 s9, 0xfffeffff
	v_mov_b32_e32 v12, 0xfffeffff
	v_cmp_gt_u64_e32 vcc, s[8:9], v[10:11]
	v_mov_b32_e32 v13, 0x10001
	v_mov_b64_e32 v[16:17], 0
	v_cndmask_b32_e32 v1, v12, v11, vcc
	v_cndmask_b32_e32 v0, v13, v10, vcc
	v_cmp_lt_u64_e32 vcc, s[8:9], v[10:11]
	s_movk_i32 s14, 0xffc0
	s_mov_b64 s[8:9], 60
	v_cndmask_b32_e32 v11, v12, v11, vcc
	v_cndmask_b32_e32 v10, v13, v10, vcc
	v_not_b32_e32 v13, v11
	v_not_b32_e32 v12, v10
	v_lshl_add_u64 v[14:15], v[10:11], 0, s[2:3]
	s_branch .LBB0_313
.LBB0_311:                              ;   in Loop: Header=BB0_313 Depth=1
	s_or_b64 exec, exec, s[12:13]
.LBB0_312:                              ;   in Loop: Header=BB0_313 Depth=1
	s_or_b64 exec, exec, s[10:11]
	s_add_i32 s14, s14, 4
	s_add_u32 s8, s8, -4
	v_lshl_add_u64 v[18:19], v[16:17], 0, s[2:3]
	v_cmp_gt_u64_e32 vcc, s[0:1], v[16:17]
	s_addc_u32 s9, s9, -1
	s_cmp_lg_u32 s14, 0
	v_cndmask_b32_e32 v17, v19, v17, vcc
	v_cndmask_b32_e32 v16, v18, v16, vcc
	s_cbranch_scc0 .LBB0_336
.LBB0_313:                              ; =>This Inner Loop Header: Depth=1
	v_lshlrev_b64 v[18:19], 1, v[16:17]
	v_lshl_add_u64 v[20:21], v[18:19], 0, s[2:3]
	v_cmp_gt_i64_e32 vcc, 0, v[16:17]
	s_add_i32 s10, s8, 3
	s_nop 0
	v_cndmask_b32_e32 v17, v19, v21, vcc
	v_cndmask_b32_e32 v16, v18, v20, vcc
	v_lshrrev_b64 v[18:19], s10, v[0:1]
	v_and_b32_e32 v18, 1, v18
	v_cmp_eq_u32_e32 vcc, 1, v18
	s_and_saveexec_b64 s[10:11], vcc
	s_cbranch_execz .LBB0_319
; %bb.314:                              ;   in Loop: Header=BB0_313 Depth=1
	v_cmp_le_u64_e32 vcc, v[16:17], v[12:13]
	s_and_saveexec_b64 s[12:13], vcc
	s_xor_b64 s[12:13], exec, s[12:13]
; %bb.315:                              ;   in Loop: Header=BB0_313 Depth=1
	v_lshl_add_u64 v[16:17], v[16:17], 0, v[10:11]
; %bb.316:                              ;   in Loop: Header=BB0_313 Depth=1
	s_andn2_saveexec_b64 s[12:13], s[12:13]
; %bb.317:                              ;   in Loop: Header=BB0_313 Depth=1
	v_lshl_add_u64 v[16:17], v[14:15], 0, v[16:17]
; %bb.318:                              ;   in Loop: Header=BB0_313 Depth=1
	s_or_b64 exec, exec, s[12:13]
.LBB0_319:                              ;   in Loop: Header=BB0_313 Depth=1
	s_or_b64 exec, exec, s[10:11]
	v_lshl_add_u64 v[18:19], v[16:17], 0, s[2:3]
	v_cmp_gt_u64_e32 vcc, s[0:1], v[16:17]
	s_add_i32 s10, s8, 2
	s_nop 0
	v_cndmask_b32_e32 v17, v19, v17, vcc
	v_cndmask_b32_e32 v16, v18, v16, vcc
	v_lshlrev_b64 v[18:19], 1, v[16:17]
	v_lshl_add_u64 v[20:21], v[18:19], 0, s[2:3]
	v_cmp_gt_i64_e32 vcc, 0, v[16:17]
	s_nop 1
	v_cndmask_b32_e32 v17, v19, v21, vcc
	v_cndmask_b32_e32 v16, v18, v20, vcc
	v_lshrrev_b64 v[18:19], s10, v[0:1]
	v_and_b32_e32 v18, 1, v18
	v_cmp_eq_u32_e32 vcc, 1, v18
	s_and_saveexec_b64 s[10:11], vcc
	s_cbranch_execz .LBB0_325
; %bb.320:                              ;   in Loop: Header=BB0_313 Depth=1
	v_cmp_le_u64_e32 vcc, v[16:17], v[12:13]
	s_and_saveexec_b64 s[12:13], vcc
	s_xor_b64 s[12:13], exec, s[12:13]
; %bb.321:                              ;   in Loop: Header=BB0_313 Depth=1
	v_lshl_add_u64 v[16:17], v[16:17], 0, v[10:11]
; %bb.322:                              ;   in Loop: Header=BB0_313 Depth=1
	s_andn2_saveexec_b64 s[12:13], s[12:13]
; %bb.323:                              ;   in Loop: Header=BB0_313 Depth=1
	v_lshl_add_u64 v[16:17], v[14:15], 0, v[16:17]
; %bb.324:                              ;   in Loop: Header=BB0_313 Depth=1
	s_or_b64 exec, exec, s[12:13]
.LBB0_325:                              ;   in Loop: Header=BB0_313 Depth=1
	s_or_b64 exec, exec, s[10:11]
	v_lshl_add_u64 v[18:19], v[16:17], 0, s[2:3]
	v_cmp_gt_u64_e32 vcc, s[0:1], v[16:17]
	s_add_i32 s10, s8, 1
	s_nop 0
	v_cndmask_b32_e32 v17, v19, v17, vcc
	v_cndmask_b32_e32 v16, v18, v16, vcc
	v_lshlrev_b64 v[18:19], 1, v[16:17]
	v_lshl_add_u64 v[20:21], v[18:19], 0, s[2:3]
	v_cmp_gt_i64_e32 vcc, 0, v[16:17]
	s_nop 1
	v_cndmask_b32_e32 v17, v19, v21, vcc
	v_cndmask_b32_e32 v16, v18, v20, vcc
	v_lshrrev_b64 v[18:19], s10, v[0:1]
	v_and_b32_e32 v18, 1, v18
	v_cmp_eq_u32_e32 vcc, 1, v18
	s_and_saveexec_b64 s[10:11], vcc
	s_cbranch_execz .LBB0_331
; %bb.326:                              ;   in Loop: Header=BB0_313 Depth=1
	v_cmp_le_u64_e32 vcc, v[16:17], v[12:13]
	s_and_saveexec_b64 s[12:13], vcc
	s_xor_b64 s[12:13], exec, s[12:13]
; %bb.327:                              ;   in Loop: Header=BB0_313 Depth=1
	v_lshl_add_u64 v[16:17], v[16:17], 0, v[10:11]
; %bb.328:                              ;   in Loop: Header=BB0_313 Depth=1
	s_andn2_saveexec_b64 s[12:13], s[12:13]
; %bb.329:                              ;   in Loop: Header=BB0_313 Depth=1
	v_lshl_add_u64 v[16:17], v[14:15], 0, v[16:17]
; %bb.330:                              ;   in Loop: Header=BB0_313 Depth=1
	s_or_b64 exec, exec, s[12:13]
.LBB0_331:                              ;   in Loop: Header=BB0_313 Depth=1
	s_or_b64 exec, exec, s[10:11]
	v_lshl_add_u64 v[18:19], v[16:17], 0, s[2:3]
	v_cmp_gt_u64_e32 vcc, s[0:1], v[16:17]
	s_nop 1
	v_cndmask_b32_e32 v17, v19, v17, vcc
	v_cndmask_b32_e32 v16, v18, v16, vcc
	v_lshlrev_b64 v[18:19], 1, v[16:17]
	v_lshl_add_u64 v[20:21], v[18:19], 0, s[2:3]
	v_cmp_gt_i64_e32 vcc, 0, v[16:17]
	s_nop 1
	v_cndmask_b32_e32 v17, v19, v21, vcc
	v_cndmask_b32_e32 v16, v18, v20, vcc
	v_lshrrev_b64 v[18:19], s8, v[0:1]
	v_and_b32_e32 v18, 1, v18
	v_cmp_eq_u32_e32 vcc, 1, v18
	s_and_saveexec_b64 s[10:11], vcc
	s_cbranch_execz .LBB0_312
; %bb.332:                              ;   in Loop: Header=BB0_313 Depth=1
	v_cmp_le_u64_e32 vcc, v[16:17], v[12:13]
	s_and_saveexec_b64 s[12:13], vcc
	s_xor_b64 s[12:13], exec, s[12:13]
; %bb.333:                              ;   in Loop: Header=BB0_313 Depth=1
	v_lshl_add_u64 v[16:17], v[16:17], 0, v[10:11]
; %bb.334:                              ;   in Loop: Header=BB0_313 Depth=1
	s_andn2_saveexec_b64 s[12:13], s[12:13]
	s_cbranch_execz .LBB0_311
; %bb.335:                              ;   in Loop: Header=BB0_313 Depth=1
	v_lshl_add_u64 v[16:17], v[14:15], 0, v[16:17]
	s_branch .LBB0_311
.LBB0_336:
	s_or_b64 exec, exec, s[4:5]
	s_waitcnt lgkmcnt(1)
	v_lshl_add_u64 v[0:1], v[8:9], 0, v[6:7]
	s_mov_b64 s[0:1], 0xffffffff
	v_lshl_add_u64 v[10:11], v[0:1], 0, s[0:1]
	v_cmp_lt_u64_e32 vcc, v[0:1], v[8:9]
	s_mov_b32 s3, -1
	s_mov_b32 s2, 0
	v_cndmask_b32_e32 v1, v1, v11, vcc
	v_cndmask_b32_e32 v0, v0, v10, vcc
	v_lshl_add_u64 v[10:11], v[0:1], 0, s[0:1]
	v_cmp_lt_u64_e32 vcc, s[2:3], v[0:1]
	s_nop 1
	v_cndmask_b32_e32 v0, v0, v10, vcc
	v_mov_b32_e32 v10, 0x20004
	v_cndmask_b32_e32 v1, v1, v11, vcc
	v_lshl_or_b32 v10, v23, 2, v10
	global_store_dword v10, v16, s[6:7]
	v_lshl_add_u64 v[10:11], v[0:1], 0, s[0:1]
	v_cmp_lt_u64_e32 vcc, s[2:3], v[0:1]
	v_mov_b32_e32 v16, 0
	s_nop 0
	v_cndmask_b32_e32 v11, v1, v11, vcc
	v_cndmask_b32_e32 v10, v0, v10, vcc
	v_cmp_ne_u64_e32 vcc, 0, v[10:11]
	s_and_saveexec_b64 s[4:5], vcc
	s_cbranch_execz .LBB0_363
; %bb.337:
	s_mov_b32 s8, 0x10001
	s_mov_b32 s9, 0xfffeffff
	v_mov_b32_e32 v12, 0xfffeffff
	v_cmp_gt_u64_e32 vcc, s[8:9], v[10:11]
	v_mov_b32_e32 v13, 0x10001
	v_mov_b64_e32 v[16:17], 0
	v_cndmask_b32_e32 v1, v12, v11, vcc
	v_cndmask_b32_e32 v0, v13, v10, vcc
	v_cmp_lt_u64_e32 vcc, s[8:9], v[10:11]
	s_movk_i32 s14, 0xffc0
	s_mov_b64 s[8:9], 60
	v_cndmask_b32_e32 v11, v12, v11, vcc
	v_cndmask_b32_e32 v10, v13, v10, vcc
	v_not_b32_e32 v13, v11
	v_not_b32_e32 v12, v10
	v_lshl_add_u64 v[14:15], v[10:11], 0, s[0:1]
	s_mov_b32 s2, 1
	s_branch .LBB0_340
.LBB0_338:                              ;   in Loop: Header=BB0_340 Depth=1
	s_or_b64 exec, exec, s[12:13]
.LBB0_339:                              ;   in Loop: Header=BB0_340 Depth=1
	s_or_b64 exec, exec, s[10:11]
	s_add_i32 s14, s14, 4
	s_add_u32 s8, s8, -4
	v_lshl_add_u64 v[18:19], v[16:17], 0, s[0:1]
	v_cmp_gt_u64_e32 vcc, s[2:3], v[16:17]
	s_addc_u32 s9, s9, -1
	s_cmp_lg_u32 s14, 0
	v_cndmask_b32_e32 v17, v19, v17, vcc
	v_cndmask_b32_e32 v16, v18, v16, vcc
	s_cbranch_scc0 .LBB0_363
.LBB0_340:                              ; =>This Inner Loop Header: Depth=1
	v_lshlrev_b64 v[18:19], 1, v[16:17]
	v_lshl_add_u64 v[20:21], v[18:19], 0, s[0:1]
	v_cmp_gt_i64_e32 vcc, 0, v[16:17]
	s_add_i32 s10, s8, 3
	s_nop 0
	v_cndmask_b32_e32 v17, v19, v21, vcc
	v_cndmask_b32_e32 v16, v18, v20, vcc
	v_lshrrev_b64 v[18:19], s10, v[0:1]
	v_and_b32_e32 v18, 1, v18
	v_cmp_eq_u32_e32 vcc, 1, v18
	s_and_saveexec_b64 s[10:11], vcc
	s_cbranch_execz .LBB0_346
; %bb.341:                              ;   in Loop: Header=BB0_340 Depth=1
	v_cmp_le_u64_e32 vcc, v[16:17], v[12:13]
	s_and_saveexec_b64 s[12:13], vcc
	s_xor_b64 s[12:13], exec, s[12:13]
; %bb.342:                              ;   in Loop: Header=BB0_340 Depth=1
	v_lshl_add_u64 v[16:17], v[16:17], 0, v[10:11]
; %bb.343:                              ;   in Loop: Header=BB0_340 Depth=1
	s_andn2_saveexec_b64 s[12:13], s[12:13]
; %bb.344:                              ;   in Loop: Header=BB0_340 Depth=1
	v_lshl_add_u64 v[16:17], v[14:15], 0, v[16:17]
; %bb.345:                              ;   in Loop: Header=BB0_340 Depth=1
	s_or_b64 exec, exec, s[12:13]
.LBB0_346:                              ;   in Loop: Header=BB0_340 Depth=1
	s_or_b64 exec, exec, s[10:11]
	v_lshl_add_u64 v[18:19], v[16:17], 0, s[0:1]
	v_cmp_gt_u64_e32 vcc, s[2:3], v[16:17]
	s_add_i32 s10, s8, 2
	s_nop 0
	v_cndmask_b32_e32 v17, v19, v17, vcc
	v_cndmask_b32_e32 v16, v18, v16, vcc
	v_lshlrev_b64 v[18:19], 1, v[16:17]
	v_lshl_add_u64 v[20:21], v[18:19], 0, s[0:1]
	v_cmp_gt_i64_e32 vcc, 0, v[16:17]
	s_nop 1
	v_cndmask_b32_e32 v17, v19, v21, vcc
	v_cndmask_b32_e32 v16, v18, v20, vcc
	v_lshrrev_b64 v[18:19], s10, v[0:1]
	v_and_b32_e32 v18, 1, v18
	v_cmp_eq_u32_e32 vcc, 1, v18
	s_and_saveexec_b64 s[10:11], vcc
	s_cbranch_execz .LBB0_352
; %bb.347:                              ;   in Loop: Header=BB0_340 Depth=1
	v_cmp_le_u64_e32 vcc, v[16:17], v[12:13]
	s_and_saveexec_b64 s[12:13], vcc
	s_xor_b64 s[12:13], exec, s[12:13]
; %bb.348:                              ;   in Loop: Header=BB0_340 Depth=1
	v_lshl_add_u64 v[16:17], v[16:17], 0, v[10:11]
; %bb.349:                              ;   in Loop: Header=BB0_340 Depth=1
	s_andn2_saveexec_b64 s[12:13], s[12:13]
; %bb.350:                              ;   in Loop: Header=BB0_340 Depth=1
	v_lshl_add_u64 v[16:17], v[14:15], 0, v[16:17]
; %bb.351:                              ;   in Loop: Header=BB0_340 Depth=1
	s_or_b64 exec, exec, s[12:13]
.LBB0_352:                              ;   in Loop: Header=BB0_340 Depth=1
	s_or_b64 exec, exec, s[10:11]
	v_lshl_add_u64 v[18:19], v[16:17], 0, s[0:1]
	v_cmp_gt_u64_e32 vcc, s[2:3], v[16:17]
	s_add_i32 s10, s8, 1
	s_nop 0
	v_cndmask_b32_e32 v17, v19, v17, vcc
	v_cndmask_b32_e32 v16, v18, v16, vcc
	v_lshlrev_b64 v[18:19], 1, v[16:17]
	v_lshl_add_u64 v[20:21], v[18:19], 0, s[0:1]
	v_cmp_gt_i64_e32 vcc, 0, v[16:17]
	s_nop 1
	v_cndmask_b32_e32 v17, v19, v21, vcc
	v_cndmask_b32_e32 v16, v18, v20, vcc
	v_lshrrev_b64 v[18:19], s10, v[0:1]
	v_and_b32_e32 v18, 1, v18
	v_cmp_eq_u32_e32 vcc, 1, v18
	s_and_saveexec_b64 s[10:11], vcc
	s_cbranch_execz .LBB0_358
; %bb.353:                              ;   in Loop: Header=BB0_340 Depth=1
	v_cmp_le_u64_e32 vcc, v[16:17], v[12:13]
	s_and_saveexec_b64 s[12:13], vcc
	s_xor_b64 s[12:13], exec, s[12:13]
; %bb.354:                              ;   in Loop: Header=BB0_340 Depth=1
	v_lshl_add_u64 v[16:17], v[16:17], 0, v[10:11]
; %bb.355:                              ;   in Loop: Header=BB0_340 Depth=1
	s_andn2_saveexec_b64 s[12:13], s[12:13]
; %bb.356:                              ;   in Loop: Header=BB0_340 Depth=1
	v_lshl_add_u64 v[16:17], v[14:15], 0, v[16:17]
; %bb.357:                              ;   in Loop: Header=BB0_340 Depth=1
	s_or_b64 exec, exec, s[12:13]
.LBB0_358:                              ;   in Loop: Header=BB0_340 Depth=1
	s_or_b64 exec, exec, s[10:11]
	v_lshl_add_u64 v[18:19], v[16:17], 0, s[0:1]
	v_cmp_gt_u64_e32 vcc, s[2:3], v[16:17]
	s_nop 1
	v_cndmask_b32_e32 v17, v19, v17, vcc
	v_cndmask_b32_e32 v16, v18, v16, vcc
	v_lshlrev_b64 v[18:19], 1, v[16:17]
	v_lshl_add_u64 v[20:21], v[18:19], 0, s[0:1]
	v_cmp_gt_i64_e32 vcc, 0, v[16:17]
	s_nop 1
	v_cndmask_b32_e32 v17, v19, v21, vcc
	v_cndmask_b32_e32 v16, v18, v20, vcc
	v_lshrrev_b64 v[18:19], s8, v[0:1]
	v_and_b32_e32 v18, 1, v18
	v_cmp_eq_u32_e32 vcc, 1, v18
	s_and_saveexec_b64 s[10:11], vcc
	s_cbranch_execz .LBB0_339
; %bb.359:                              ;   in Loop: Header=BB0_340 Depth=1
	v_cmp_le_u64_e32 vcc, v[16:17], v[12:13]
	s_and_saveexec_b64 s[12:13], vcc
	s_xor_b64 s[12:13], exec, s[12:13]
; %bb.360:                              ;   in Loop: Header=BB0_340 Depth=1
	v_lshl_add_u64 v[16:17], v[16:17], 0, v[10:11]
; %bb.361:                              ;   in Loop: Header=BB0_340 Depth=1
	s_andn2_saveexec_b64 s[12:13], s[12:13]
	s_cbranch_execz .LBB0_338
; %bb.362:                              ;   in Loop: Header=BB0_340 Depth=1
	v_lshl_add_u64 v[16:17], v[14:15], 0, v[16:17]
	s_branch .LBB0_338
.LBB0_363:
	s_or_b64 exec, exec, s[4:5]
	v_sub_co_u32_e32 v0, vcc, v6, v8
	s_mov_b32 s0, 1
	s_nop 0
	v_subb_co_u32_e32 v1, vcc, v7, v9, vcc
	s_mov_b32 s1, -1
	v_lshl_add_u64 v[10:11], v[0:1], 0, s[0:1]
	v_cmp_lt_u64_e32 vcc, v[6:7], v[8:9]
	v_lshl_or_b32 v6, v24, 2, 8
	s_mov_b32 s4, 0
	v_cndmask_b32_e32 v1, v1, v11, vcc
	v_cndmask_b32_e32 v0, v0, v10, vcc
	s_mov_b32 s5, s1
	s_mov_b64 s[2:3], 0xffffffff
	global_store_dword v6, v16, s[6:7]
	v_lshl_add_u64 v[6:7], v[0:1], 0, s[2:3]
	v_cmp_lt_u64_e32 vcc, s[4:5], v[0:1]
	v_mov_b32_e32 v12, 0
	s_nop 0
	v_cndmask_b32_e32 v7, v1, v7, vcc
	v_cndmask_b32_e32 v6, v0, v6, vcc
	v_cmp_ne_u64_e32 vcc, 0, v[6:7]
	s_and_saveexec_b64 s[4:5], vcc
	s_cbranch_execz .LBB0_390
; %bb.364:
	s_mov_b32 s8, 0x10001
	s_mov_b32 s9, 0xfffeffff
	v_mov_b32_e32 v8, 0xfffeffff
	v_cmp_gt_u64_e32 vcc, s[8:9], v[6:7]
	v_mov_b32_e32 v9, 0x10001
	v_mov_b64_e32 v[12:13], 0
	v_cndmask_b32_e32 v1, v8, v7, vcc
	v_cndmask_b32_e32 v0, v9, v6, vcc
	v_cmp_lt_u64_e32 vcc, s[8:9], v[6:7]
	s_movk_i32 s14, 0xffc0
	s_mov_b64 s[8:9], 60
	v_cndmask_b32_e32 v7, v8, v7, vcc
	v_cndmask_b32_e32 v6, v9, v6, vcc
	v_not_b32_e32 v9, v7
	v_not_b32_e32 v8, v6
	v_lshl_add_u64 v[10:11], v[6:7], 0, s[2:3]
	s_branch .LBB0_367
.LBB0_365:                              ;   in Loop: Header=BB0_367 Depth=1
	s_or_b64 exec, exec, s[12:13]
.LBB0_366:                              ;   in Loop: Header=BB0_367 Depth=1
	s_or_b64 exec, exec, s[10:11]
	s_add_i32 s14, s14, 4
	s_add_u32 s8, s8, -4
	v_lshl_add_u64 v[14:15], v[12:13], 0, s[2:3]
	v_cmp_gt_u64_e32 vcc, s[0:1], v[12:13]
	s_addc_u32 s9, s9, -1
	s_cmp_lg_u32 s14, 0
	v_cndmask_b32_e32 v13, v15, v13, vcc
	v_cndmask_b32_e32 v12, v14, v12, vcc
	s_cbranch_scc0 .LBB0_390
.LBB0_367:                              ; =>This Inner Loop Header: Depth=1
	v_lshlrev_b64 v[14:15], 1, v[12:13]
	v_lshl_add_u64 v[16:17], v[14:15], 0, s[2:3]
	v_cmp_gt_i64_e32 vcc, 0, v[12:13]
	s_add_i32 s10, s8, 3
	s_nop 0
	v_cndmask_b32_e32 v13, v15, v17, vcc
	v_cndmask_b32_e32 v12, v14, v16, vcc
	v_lshrrev_b64 v[14:15], s10, v[0:1]
	v_and_b32_e32 v14, 1, v14
	v_cmp_eq_u32_e32 vcc, 1, v14
	s_and_saveexec_b64 s[10:11], vcc
	s_cbranch_execz .LBB0_373
; %bb.368:                              ;   in Loop: Header=BB0_367 Depth=1
	v_cmp_le_u64_e32 vcc, v[12:13], v[8:9]
	s_and_saveexec_b64 s[12:13], vcc
	s_xor_b64 s[12:13], exec, s[12:13]
; %bb.369:                              ;   in Loop: Header=BB0_367 Depth=1
	v_lshl_add_u64 v[12:13], v[12:13], 0, v[6:7]
; %bb.370:                              ;   in Loop: Header=BB0_367 Depth=1
	s_andn2_saveexec_b64 s[12:13], s[12:13]
; %bb.371:                              ;   in Loop: Header=BB0_367 Depth=1
	v_lshl_add_u64 v[12:13], v[10:11], 0, v[12:13]
; %bb.372:                              ;   in Loop: Header=BB0_367 Depth=1
	s_or_b64 exec, exec, s[12:13]
.LBB0_373:                              ;   in Loop: Header=BB0_367 Depth=1
	s_or_b64 exec, exec, s[10:11]
	v_lshl_add_u64 v[14:15], v[12:13], 0, s[2:3]
	v_cmp_gt_u64_e32 vcc, s[0:1], v[12:13]
	s_add_i32 s10, s8, 2
	s_nop 0
	v_cndmask_b32_e32 v13, v15, v13, vcc
	v_cndmask_b32_e32 v12, v14, v12, vcc
	v_lshlrev_b64 v[14:15], 1, v[12:13]
	v_lshl_add_u64 v[16:17], v[14:15], 0, s[2:3]
	v_cmp_gt_i64_e32 vcc, 0, v[12:13]
	s_nop 1
	v_cndmask_b32_e32 v13, v15, v17, vcc
	v_cndmask_b32_e32 v12, v14, v16, vcc
	v_lshrrev_b64 v[14:15], s10, v[0:1]
	v_and_b32_e32 v14, 1, v14
	v_cmp_eq_u32_e32 vcc, 1, v14
	s_and_saveexec_b64 s[10:11], vcc
	s_cbranch_execz .LBB0_379
; %bb.374:                              ;   in Loop: Header=BB0_367 Depth=1
	v_cmp_le_u64_e32 vcc, v[12:13], v[8:9]
	s_and_saveexec_b64 s[12:13], vcc
	s_xor_b64 s[12:13], exec, s[12:13]
; %bb.375:                              ;   in Loop: Header=BB0_367 Depth=1
	v_lshl_add_u64 v[12:13], v[12:13], 0, v[6:7]
; %bb.376:                              ;   in Loop: Header=BB0_367 Depth=1
	s_andn2_saveexec_b64 s[12:13], s[12:13]
; %bb.377:                              ;   in Loop: Header=BB0_367 Depth=1
	v_lshl_add_u64 v[12:13], v[10:11], 0, v[12:13]
; %bb.378:                              ;   in Loop: Header=BB0_367 Depth=1
	s_or_b64 exec, exec, s[12:13]
.LBB0_379:                              ;   in Loop: Header=BB0_367 Depth=1
	s_or_b64 exec, exec, s[10:11]
	v_lshl_add_u64 v[14:15], v[12:13], 0, s[2:3]
	v_cmp_gt_u64_e32 vcc, s[0:1], v[12:13]
	s_add_i32 s10, s8, 1
	s_nop 0
	v_cndmask_b32_e32 v13, v15, v13, vcc
	v_cndmask_b32_e32 v12, v14, v12, vcc
	v_lshlrev_b64 v[14:15], 1, v[12:13]
	v_lshl_add_u64 v[16:17], v[14:15], 0, s[2:3]
	v_cmp_gt_i64_e32 vcc, 0, v[12:13]
	s_nop 1
	v_cndmask_b32_e32 v13, v15, v17, vcc
	v_cndmask_b32_e32 v12, v14, v16, vcc
	v_lshrrev_b64 v[14:15], s10, v[0:1]
	v_and_b32_e32 v14, 1, v14
	v_cmp_eq_u32_e32 vcc, 1, v14
	s_and_saveexec_b64 s[10:11], vcc
	s_cbranch_execz .LBB0_385
; %bb.380:                              ;   in Loop: Header=BB0_367 Depth=1
	v_cmp_le_u64_e32 vcc, v[12:13], v[8:9]
	s_and_saveexec_b64 s[12:13], vcc
	s_xor_b64 s[12:13], exec, s[12:13]
; %bb.381:                              ;   in Loop: Header=BB0_367 Depth=1
	v_lshl_add_u64 v[12:13], v[12:13], 0, v[6:7]
; %bb.382:                              ;   in Loop: Header=BB0_367 Depth=1
	s_andn2_saveexec_b64 s[12:13], s[12:13]
; %bb.383:                              ;   in Loop: Header=BB0_367 Depth=1
	v_lshl_add_u64 v[12:13], v[10:11], 0, v[12:13]
; %bb.384:                              ;   in Loop: Header=BB0_367 Depth=1
	s_or_b64 exec, exec, s[12:13]
.LBB0_385:                              ;   in Loop: Header=BB0_367 Depth=1
	s_or_b64 exec, exec, s[10:11]
	v_lshl_add_u64 v[14:15], v[12:13], 0, s[2:3]
	v_cmp_gt_u64_e32 vcc, s[0:1], v[12:13]
	s_nop 1
	v_cndmask_b32_e32 v13, v15, v13, vcc
	v_cndmask_b32_e32 v12, v14, v12, vcc
	v_lshlrev_b64 v[14:15], 1, v[12:13]
	v_lshl_add_u64 v[16:17], v[14:15], 0, s[2:3]
	v_cmp_gt_i64_e32 vcc, 0, v[12:13]
	s_nop 1
	v_cndmask_b32_e32 v13, v15, v17, vcc
	v_cndmask_b32_e32 v12, v14, v16, vcc
	v_lshrrev_b64 v[14:15], s8, v[0:1]
	v_and_b32_e32 v14, 1, v14
	v_cmp_eq_u32_e32 vcc, 1, v14
	s_and_saveexec_b64 s[10:11], vcc
	s_cbranch_execz .LBB0_366
; %bb.386:                              ;   in Loop: Header=BB0_367 Depth=1
	v_cmp_le_u64_e32 vcc, v[12:13], v[8:9]
	s_and_saveexec_b64 s[12:13], vcc
	s_xor_b64 s[12:13], exec, s[12:13]
; %bb.387:                              ;   in Loop: Header=BB0_367 Depth=1
	v_lshl_add_u64 v[12:13], v[12:13], 0, v[6:7]
; %bb.388:                              ;   in Loop: Header=BB0_367 Depth=1
	s_andn2_saveexec_b64 s[12:13], s[12:13]
	s_cbranch_execz .LBB0_365
; %bb.389:                              ;   in Loop: Header=BB0_367 Depth=1
	v_lshl_add_u64 v[12:13], v[10:11], 0, v[12:13]
	s_branch .LBB0_365
.LBB0_390:
	s_or_b64 exec, exec, s[4:5]
	s_waitcnt lgkmcnt(0)
	v_lshl_add_u64 v[0:1], v[4:5], 0, v[2:3]
	s_mov_b64 s[0:1], 0xffffffff
	v_lshl_add_u64 v[6:7], v[0:1], 0, s[0:1]
	v_cmp_lt_u64_e32 vcc, v[0:1], v[4:5]
	s_mov_b32 s3, -1
	s_mov_b32 s2, 0
	v_cndmask_b32_e32 v1, v1, v7, vcc
	v_cndmask_b32_e32 v0, v0, v6, vcc
	v_lshl_add_u64 v[6:7], v[0:1], 0, s[0:1]
	v_cmp_lt_u64_e32 vcc, s[2:3], v[0:1]
	s_nop 1
	v_cndmask_b32_e32 v0, v0, v6, vcc
	v_mov_b32_e32 v6, 0x20008
	v_cndmask_b32_e32 v1, v1, v7, vcc
	v_lshl_or_b32 v6, v23, 2, v6
	global_store_dword v6, v12, s[6:7]
	v_lshl_add_u64 v[6:7], v[0:1], 0, s[0:1]
	v_cmp_lt_u64_e32 vcc, s[2:3], v[0:1]
	v_mov_b32_e32 v12, 0
	s_nop 0
	v_cndmask_b32_e32 v7, v1, v7, vcc
	v_cndmask_b32_e32 v6, v0, v6, vcc
	v_cmp_ne_u64_e32 vcc, 0, v[6:7]
	s_and_saveexec_b64 s[4:5], vcc
	s_cbranch_execz .LBB0_417
; %bb.391:
	s_mov_b32 s8, 0x10001
	s_mov_b32 s9, 0xfffeffff
	v_mov_b32_e32 v8, 0xfffeffff
	v_cmp_gt_u64_e32 vcc, s[8:9], v[6:7]
	v_mov_b32_e32 v9, 0x10001
	v_mov_b64_e32 v[12:13], 0
	v_cndmask_b32_e32 v1, v8, v7, vcc
	v_cndmask_b32_e32 v0, v9, v6, vcc
	v_cmp_lt_u64_e32 vcc, s[8:9], v[6:7]
	s_movk_i32 s14, 0xffc0
	s_mov_b64 s[8:9], 60
	v_cndmask_b32_e32 v7, v8, v7, vcc
	v_cndmask_b32_e32 v6, v9, v6, vcc
	v_not_b32_e32 v9, v7
	v_not_b32_e32 v8, v6
	v_lshl_add_u64 v[10:11], v[6:7], 0, s[0:1]
	s_mov_b32 s2, 1
	s_branch .LBB0_394
.LBB0_392:                              ;   in Loop: Header=BB0_394 Depth=1
	s_or_b64 exec, exec, s[12:13]
.LBB0_393:                              ;   in Loop: Header=BB0_394 Depth=1
	s_or_b64 exec, exec, s[10:11]
	s_add_i32 s14, s14, 4
	s_add_u32 s8, s8, -4
	v_lshl_add_u64 v[14:15], v[12:13], 0, s[0:1]
	v_cmp_gt_u64_e32 vcc, s[2:3], v[12:13]
	s_addc_u32 s9, s9, -1
	s_cmp_lg_u32 s14, 0
	v_cndmask_b32_e32 v13, v15, v13, vcc
	v_cndmask_b32_e32 v12, v14, v12, vcc
	s_cbranch_scc0 .LBB0_417
.LBB0_394:                              ; =>This Inner Loop Header: Depth=1
	v_lshlrev_b64 v[14:15], 1, v[12:13]
	v_lshl_add_u64 v[16:17], v[14:15], 0, s[0:1]
	v_cmp_gt_i64_e32 vcc, 0, v[12:13]
	s_add_i32 s10, s8, 3
	s_nop 0
	v_cndmask_b32_e32 v13, v15, v17, vcc
	v_cndmask_b32_e32 v12, v14, v16, vcc
	v_lshrrev_b64 v[14:15], s10, v[0:1]
	v_and_b32_e32 v14, 1, v14
	v_cmp_eq_u32_e32 vcc, 1, v14
	s_and_saveexec_b64 s[10:11], vcc
	s_cbranch_execz .LBB0_400
; %bb.395:                              ;   in Loop: Header=BB0_394 Depth=1
	v_cmp_le_u64_e32 vcc, v[12:13], v[8:9]
	s_and_saveexec_b64 s[12:13], vcc
	s_xor_b64 s[12:13], exec, s[12:13]
; %bb.396:                              ;   in Loop: Header=BB0_394 Depth=1
	v_lshl_add_u64 v[12:13], v[12:13], 0, v[6:7]
; %bb.397:                              ;   in Loop: Header=BB0_394 Depth=1
	s_andn2_saveexec_b64 s[12:13], s[12:13]
; %bb.398:                              ;   in Loop: Header=BB0_394 Depth=1
	v_lshl_add_u64 v[12:13], v[10:11], 0, v[12:13]
; %bb.399:                              ;   in Loop: Header=BB0_394 Depth=1
	s_or_b64 exec, exec, s[12:13]
.LBB0_400:                              ;   in Loop: Header=BB0_394 Depth=1
	s_or_b64 exec, exec, s[10:11]
	v_lshl_add_u64 v[14:15], v[12:13], 0, s[0:1]
	v_cmp_gt_u64_e32 vcc, s[2:3], v[12:13]
	s_add_i32 s10, s8, 2
	s_nop 0
	v_cndmask_b32_e32 v13, v15, v13, vcc
	v_cndmask_b32_e32 v12, v14, v12, vcc
	v_lshlrev_b64 v[14:15], 1, v[12:13]
	v_lshl_add_u64 v[16:17], v[14:15], 0, s[0:1]
	v_cmp_gt_i64_e32 vcc, 0, v[12:13]
	s_nop 1
	v_cndmask_b32_e32 v13, v15, v17, vcc
	v_cndmask_b32_e32 v12, v14, v16, vcc
	v_lshrrev_b64 v[14:15], s10, v[0:1]
	v_and_b32_e32 v14, 1, v14
	v_cmp_eq_u32_e32 vcc, 1, v14
	s_and_saveexec_b64 s[10:11], vcc
	s_cbranch_execz .LBB0_406
; %bb.401:                              ;   in Loop: Header=BB0_394 Depth=1
	v_cmp_le_u64_e32 vcc, v[12:13], v[8:9]
	s_and_saveexec_b64 s[12:13], vcc
	s_xor_b64 s[12:13], exec, s[12:13]
; %bb.402:                              ;   in Loop: Header=BB0_394 Depth=1
	v_lshl_add_u64 v[12:13], v[12:13], 0, v[6:7]
; %bb.403:                              ;   in Loop: Header=BB0_394 Depth=1
	s_andn2_saveexec_b64 s[12:13], s[12:13]
; %bb.404:                              ;   in Loop: Header=BB0_394 Depth=1
	v_lshl_add_u64 v[12:13], v[10:11], 0, v[12:13]
; %bb.405:                              ;   in Loop: Header=BB0_394 Depth=1
	s_or_b64 exec, exec, s[12:13]
.LBB0_406:                              ;   in Loop: Header=BB0_394 Depth=1
	s_or_b64 exec, exec, s[10:11]
	v_lshl_add_u64 v[14:15], v[12:13], 0, s[0:1]
	v_cmp_gt_u64_e32 vcc, s[2:3], v[12:13]
	s_add_i32 s10, s8, 1
	s_nop 0
	v_cndmask_b32_e32 v13, v15, v13, vcc
	v_cndmask_b32_e32 v12, v14, v12, vcc
	v_lshlrev_b64 v[14:15], 1, v[12:13]
	v_lshl_add_u64 v[16:17], v[14:15], 0, s[0:1]
	v_cmp_gt_i64_e32 vcc, 0, v[12:13]
	s_nop 1
	v_cndmask_b32_e32 v13, v15, v17, vcc
	v_cndmask_b32_e32 v12, v14, v16, vcc
	v_lshrrev_b64 v[14:15], s10, v[0:1]
	v_and_b32_e32 v14, 1, v14
	v_cmp_eq_u32_e32 vcc, 1, v14
	s_and_saveexec_b64 s[10:11], vcc
	s_cbranch_execz .LBB0_412
; %bb.407:                              ;   in Loop: Header=BB0_394 Depth=1
	v_cmp_le_u64_e32 vcc, v[12:13], v[8:9]
	s_and_saveexec_b64 s[12:13], vcc
	s_xor_b64 s[12:13], exec, s[12:13]
; %bb.408:                              ;   in Loop: Header=BB0_394 Depth=1
	v_lshl_add_u64 v[12:13], v[12:13], 0, v[6:7]
; %bb.409:                              ;   in Loop: Header=BB0_394 Depth=1
	s_andn2_saveexec_b64 s[12:13], s[12:13]
; %bb.410:                              ;   in Loop: Header=BB0_394 Depth=1
	v_lshl_add_u64 v[12:13], v[10:11], 0, v[12:13]
; %bb.411:                              ;   in Loop: Header=BB0_394 Depth=1
	s_or_b64 exec, exec, s[12:13]
.LBB0_412:                              ;   in Loop: Header=BB0_394 Depth=1
	s_or_b64 exec, exec, s[10:11]
	v_lshl_add_u64 v[14:15], v[12:13], 0, s[0:1]
	v_cmp_gt_u64_e32 vcc, s[2:3], v[12:13]
	s_nop 1
	v_cndmask_b32_e32 v13, v15, v13, vcc
	v_cndmask_b32_e32 v12, v14, v12, vcc
	v_lshlrev_b64 v[14:15], 1, v[12:13]
	v_lshl_add_u64 v[16:17], v[14:15], 0, s[0:1]
	v_cmp_gt_i64_e32 vcc, 0, v[12:13]
	s_nop 1
	v_cndmask_b32_e32 v13, v15, v17, vcc
	v_cndmask_b32_e32 v12, v14, v16, vcc
	v_lshrrev_b64 v[14:15], s8, v[0:1]
	v_and_b32_e32 v14, 1, v14
	v_cmp_eq_u32_e32 vcc, 1, v14
	s_and_saveexec_b64 s[10:11], vcc
	s_cbranch_execz .LBB0_393
; %bb.413:                              ;   in Loop: Header=BB0_394 Depth=1
	v_cmp_le_u64_e32 vcc, v[12:13], v[8:9]
	s_and_saveexec_b64 s[12:13], vcc
	s_xor_b64 s[12:13], exec, s[12:13]
; %bb.414:                              ;   in Loop: Header=BB0_394 Depth=1
	v_lshl_add_u64 v[12:13], v[12:13], 0, v[6:7]
; %bb.415:                              ;   in Loop: Header=BB0_394 Depth=1
	s_andn2_saveexec_b64 s[12:13], s[12:13]
	s_cbranch_execz .LBB0_392
; %bb.416:                              ;   in Loop: Header=BB0_394 Depth=1
	v_lshl_add_u64 v[12:13], v[10:11], 0, v[12:13]
	s_branch .LBB0_392
.LBB0_417:
	s_or_b64 exec, exec, s[4:5]
	v_sub_co_u32_e32 v0, vcc, v2, v4
	s_mov_b32 s0, 1
	s_nop 0
	v_subb_co_u32_e32 v1, vcc, v3, v5, vcc
	s_mov_b32 s1, -1
	v_lshl_add_u64 v[6:7], v[0:1], 0, s[0:1]
	v_cmp_lt_u64_e32 vcc, v[2:3], v[4:5]
	v_lshl_or_b32 v2, v24, 2, 12
	s_mov_b32 s4, 0
	v_cndmask_b32_e32 v1, v1, v7, vcc
	v_cndmask_b32_e32 v0, v0, v6, vcc
	s_mov_b32 s5, s1
	s_mov_b64 s[2:3], 0xffffffff
	global_store_dword v2, v12, s[6:7]
	v_lshl_add_u64 v[2:3], v[0:1], 0, s[2:3]
	v_cmp_lt_u64_e32 vcc, s[4:5], v[0:1]
	v_mov_b32_e32 v8, 0
	s_nop 0
	v_cndmask_b32_e32 v3, v1, v3, vcc
	v_cndmask_b32_e32 v2, v0, v2, vcc
	v_cmp_ne_u64_e32 vcc, 0, v[2:3]
	s_and_saveexec_b64 s[4:5], vcc
	s_cbranch_execz .LBB0_444
; %bb.418:
	s_mov_b32 s8, 0x10001
	s_mov_b32 s9, 0xfffeffff
	v_mov_b32_e32 v4, 0xfffeffff
	v_cmp_gt_u64_e32 vcc, s[8:9], v[2:3]
	v_mov_b32_e32 v5, 0x10001
	v_mov_b64_e32 v[8:9], 0
	v_cndmask_b32_e32 v1, v4, v3, vcc
	v_cndmask_b32_e32 v0, v5, v2, vcc
	v_cmp_lt_u64_e32 vcc, s[8:9], v[2:3]
	s_movk_i32 s14, 0xffc0
	s_mov_b64 s[8:9], 60
	v_cndmask_b32_e32 v3, v4, v3, vcc
	v_cndmask_b32_e32 v2, v5, v2, vcc
	v_not_b32_e32 v5, v3
	v_not_b32_e32 v4, v2
	v_lshl_add_u64 v[6:7], v[2:3], 0, s[2:3]
	s_branch .LBB0_421
.LBB0_419:                              ;   in Loop: Header=BB0_421 Depth=1
	s_or_b64 exec, exec, s[12:13]
.LBB0_420:                              ;   in Loop: Header=BB0_421 Depth=1
	s_or_b64 exec, exec, s[10:11]
	s_add_i32 s14, s14, 4
	s_add_u32 s8, s8, -4
	v_lshl_add_u64 v[10:11], v[8:9], 0, s[2:3]
	v_cmp_gt_u64_e32 vcc, s[0:1], v[8:9]
	s_addc_u32 s9, s9, -1
	s_cmp_lg_u32 s14, 0
	v_cndmask_b32_e32 v9, v11, v9, vcc
	v_cndmask_b32_e32 v8, v10, v8, vcc
	s_cbranch_scc0 .LBB0_444
.LBB0_421:                              ; =>This Inner Loop Header: Depth=1
	v_lshlrev_b64 v[10:11], 1, v[8:9]
	v_lshl_add_u64 v[12:13], v[10:11], 0, s[2:3]
	v_cmp_gt_i64_e32 vcc, 0, v[8:9]
	s_add_i32 s10, s8, 3
	s_nop 0
	v_cndmask_b32_e32 v9, v11, v13, vcc
	v_cndmask_b32_e32 v8, v10, v12, vcc
	v_lshrrev_b64 v[10:11], s10, v[0:1]
	v_and_b32_e32 v10, 1, v10
	v_cmp_eq_u32_e32 vcc, 1, v10
	s_and_saveexec_b64 s[10:11], vcc
	s_cbranch_execz .LBB0_427
; %bb.422:                              ;   in Loop: Header=BB0_421 Depth=1
	v_cmp_le_u64_e32 vcc, v[8:9], v[4:5]
	s_and_saveexec_b64 s[12:13], vcc
	s_xor_b64 s[12:13], exec, s[12:13]
; %bb.423:                              ;   in Loop: Header=BB0_421 Depth=1
	v_lshl_add_u64 v[8:9], v[8:9], 0, v[2:3]
; %bb.424:                              ;   in Loop: Header=BB0_421 Depth=1
	s_andn2_saveexec_b64 s[12:13], s[12:13]
; %bb.425:                              ;   in Loop: Header=BB0_421 Depth=1
	v_lshl_add_u64 v[8:9], v[6:7], 0, v[8:9]
; %bb.426:                              ;   in Loop: Header=BB0_421 Depth=1
	s_or_b64 exec, exec, s[12:13]
.LBB0_427:                              ;   in Loop: Header=BB0_421 Depth=1
	s_or_b64 exec, exec, s[10:11]
	v_lshl_add_u64 v[10:11], v[8:9], 0, s[2:3]
	v_cmp_gt_u64_e32 vcc, s[0:1], v[8:9]
	s_add_i32 s10, s8, 2
	s_nop 0
	v_cndmask_b32_e32 v9, v11, v9, vcc
	v_cndmask_b32_e32 v8, v10, v8, vcc
	v_lshlrev_b64 v[10:11], 1, v[8:9]
	v_lshl_add_u64 v[12:13], v[10:11], 0, s[2:3]
	v_cmp_gt_i64_e32 vcc, 0, v[8:9]
	s_nop 1
	v_cndmask_b32_e32 v9, v11, v13, vcc
	v_cndmask_b32_e32 v8, v10, v12, vcc
	v_lshrrev_b64 v[10:11], s10, v[0:1]
	v_and_b32_e32 v10, 1, v10
	v_cmp_eq_u32_e32 vcc, 1, v10
	s_and_saveexec_b64 s[10:11], vcc
	s_cbranch_execz .LBB0_433
; %bb.428:                              ;   in Loop: Header=BB0_421 Depth=1
	v_cmp_le_u64_e32 vcc, v[8:9], v[4:5]
	s_and_saveexec_b64 s[12:13], vcc
	s_xor_b64 s[12:13], exec, s[12:13]
; %bb.429:                              ;   in Loop: Header=BB0_421 Depth=1
	v_lshl_add_u64 v[8:9], v[8:9], 0, v[2:3]
; %bb.430:                              ;   in Loop: Header=BB0_421 Depth=1
	s_andn2_saveexec_b64 s[12:13], s[12:13]
; %bb.431:                              ;   in Loop: Header=BB0_421 Depth=1
	v_lshl_add_u64 v[8:9], v[6:7], 0, v[8:9]
; %bb.432:                              ;   in Loop: Header=BB0_421 Depth=1
	s_or_b64 exec, exec, s[12:13]
.LBB0_433:                              ;   in Loop: Header=BB0_421 Depth=1
	s_or_b64 exec, exec, s[10:11]
	v_lshl_add_u64 v[10:11], v[8:9], 0, s[2:3]
	v_cmp_gt_u64_e32 vcc, s[0:1], v[8:9]
	s_add_i32 s10, s8, 1
	s_nop 0
	v_cndmask_b32_e32 v9, v11, v9, vcc
	v_cndmask_b32_e32 v8, v10, v8, vcc
	v_lshlrev_b64 v[10:11], 1, v[8:9]
	v_lshl_add_u64 v[12:13], v[10:11], 0, s[2:3]
	v_cmp_gt_i64_e32 vcc, 0, v[8:9]
	s_nop 1
	v_cndmask_b32_e32 v9, v11, v13, vcc
	v_cndmask_b32_e32 v8, v10, v12, vcc
	v_lshrrev_b64 v[10:11], s10, v[0:1]
	v_and_b32_e32 v10, 1, v10
	v_cmp_eq_u32_e32 vcc, 1, v10
	s_and_saveexec_b64 s[10:11], vcc
	s_cbranch_execz .LBB0_439
; %bb.434:                              ;   in Loop: Header=BB0_421 Depth=1
	v_cmp_le_u64_e32 vcc, v[8:9], v[4:5]
	s_and_saveexec_b64 s[12:13], vcc
	s_xor_b64 s[12:13], exec, s[12:13]
; %bb.435:                              ;   in Loop: Header=BB0_421 Depth=1
	v_lshl_add_u64 v[8:9], v[8:9], 0, v[2:3]
; %bb.436:                              ;   in Loop: Header=BB0_421 Depth=1
	s_andn2_saveexec_b64 s[12:13], s[12:13]
; %bb.437:                              ;   in Loop: Header=BB0_421 Depth=1
	v_lshl_add_u64 v[8:9], v[6:7], 0, v[8:9]
; %bb.438:                              ;   in Loop: Header=BB0_421 Depth=1
	s_or_b64 exec, exec, s[12:13]
.LBB0_439:                              ;   in Loop: Header=BB0_421 Depth=1
	s_or_b64 exec, exec, s[10:11]
	v_lshl_add_u64 v[10:11], v[8:9], 0, s[2:3]
	v_cmp_gt_u64_e32 vcc, s[0:1], v[8:9]
	s_nop 1
	v_cndmask_b32_e32 v9, v11, v9, vcc
	v_cndmask_b32_e32 v8, v10, v8, vcc
	v_lshlrev_b64 v[10:11], 1, v[8:9]
	v_lshl_add_u64 v[12:13], v[10:11], 0, s[2:3]
	v_cmp_gt_i64_e32 vcc, 0, v[8:9]
	s_nop 1
	v_cndmask_b32_e32 v9, v11, v13, vcc
	v_cndmask_b32_e32 v8, v10, v12, vcc
	v_lshrrev_b64 v[10:11], s8, v[0:1]
	v_and_b32_e32 v10, 1, v10
	v_cmp_eq_u32_e32 vcc, 1, v10
	s_and_saveexec_b64 s[10:11], vcc
	s_cbranch_execz .LBB0_420
; %bb.440:                              ;   in Loop: Header=BB0_421 Depth=1
	v_cmp_le_u64_e32 vcc, v[8:9], v[4:5]
	s_and_saveexec_b64 s[12:13], vcc
	s_xor_b64 s[12:13], exec, s[12:13]
; %bb.441:                              ;   in Loop: Header=BB0_421 Depth=1
	v_lshl_add_u64 v[8:9], v[8:9], 0, v[2:3]
; %bb.442:                              ;   in Loop: Header=BB0_421 Depth=1
	s_andn2_saveexec_b64 s[12:13], s[12:13]
	s_cbranch_execz .LBB0_419
; %bb.443:                              ;   in Loop: Header=BB0_421 Depth=1
	v_lshl_add_u64 v[8:9], v[6:7], 0, v[8:9]
	s_branch .LBB0_419
.LBB0_444:
	s_or_b64 exec, exec, s[4:5]
	v_mov_b32_e32 v0, 0x2000c
	v_lshl_or_b32 v0, v23, 2, v0
	global_store_dword v0, v8, s[6:7]
	s_endpgm
.LBB0_445:
	s_mov_b64 s[4:5], 0xffffffff
	v_cmp_lt_u64_e32 vcc, s[4:5], v[8:9]
	v_mov_b32_e32 v3, v8
	s_mov_b64 s[8:9], 0
	s_mov_b64 s[10:11], 0
                                        ; implicit-def: $vgpr9
	s_and_saveexec_b64 s[4:5], vcc
	s_cbranch_execz .LBB0_449
; %bb.446:
	v_cmp_ne_u32_e32 vcc, v10, v6
	s_mov_b64 s[10:11], -1
	v_mov_b64_e32 v[6:7], v[2:3]
                                        ; implicit-def: $vgpr9
	s_and_saveexec_b64 s[12:13], vcc
; %bb.447:
	s_mov_b64 s[8:9], exec
	v_add_u32_e32 v9, -1, v2
	v_add_u32_e32 v7, 1, v8
	s_xor_b64 s[10:11], exec, -1
; %bb.448:
	s_or_b64 exec, exec, s[12:13]
	s_and_b64 s[10:11], s[10:11], exec
	s_and_b64 s[8:9], s[8:9], exec
.LBB0_449:
	s_or_b64 exec, exec, s[4:5]
	s_and_b64 s[4:5], s[10:11], exec
	s_orn2_b64 s[8:9], s[8:9], exec
	v_mov_b64_e32 v[4:5], v[2:3]
	v_mov_b32_e32 v2, v9
	s_or_b64 exec, exec, s[2:3]
	v_mov_b64_e32 v[8:9], 0xffffffff
	s_and_saveexec_b64 s[2:3], s[8:9]
	s_cbranch_execz .LBB0_225
.LBB0_450:
	v_mov_b32_e32 v3, 0
	s_or_b64 s[4:5], s[4:5], exec
	v_mov_b64_e32 v[8:9], v[2:3]
	s_or_b64 exec, exec, s[2:3]
	s_and_saveexec_b64 s[2:3], s[4:5]
	s_cbranch_execnz .LBB0_226
	s_branch .LBB0_227
.LBB0_451:
	s_mov_b64 s[8:9], 0xffffffff
	v_cmp_lt_u64_e32 vcc, s[8:9], v[16:17]
	v_mov_b32_e32 v13, v16
	s_mov_b64 s[10:11], 0
	s_mov_b64 s[12:13], 0
                                        ; implicit-def: $vgpr17
	s_and_saveexec_b64 s[8:9], vcc
	s_cbranch_execz .LBB0_455
; %bb.452:
	v_cmp_ne_u32_e32 vcc, v18, v14
	s_mov_b64 s[12:13], -1
	v_mov_b64_e32 v[14:15], v[12:13]
                                        ; implicit-def: $vgpr17
	s_and_saveexec_b64 s[14:15], vcc
; %bb.453:
	s_mov_b64 s[10:11], exec
	v_add_u32_e32 v17, -1, v12
	v_add_u32_e32 v15, 1, v16
	s_xor_b64 s[12:13], exec, -1
; %bb.454:
	s_or_b64 exec, exec, s[14:15]
	s_and_b64 s[12:13], s[12:13], exec
	s_and_b64 s[10:11], s[10:11], exec
.LBB0_455:
	s_or_b64 exec, exec, s[8:9]
	s_and_b64 s[8:9], s[12:13], exec
	s_orn2_b64 s[10:11], s[10:11], exec
	v_mov_b64_e32 v[10:11], v[12:13]
	v_mov_b32_e32 v12, v17
	s_or_b64 exec, exec, s[4:5]
	v_mov_b64_e32 v[16:17], 0xffffffff
	s_and_saveexec_b64 s[4:5], s[10:11]
	s_cbranch_execz .LBB0_150
.LBB0_456:
	v_mov_b32_e32 v13, 0
	s_or_b64 s[8:9], s[8:9], exec
	v_mov_b64_e32 v[16:17], v[12:13]
	s_or_b64 exec, exec, s[4:5]
	s_and_saveexec_b64 s[4:5], s[8:9]
	s_cbranch_execnz .LBB0_151
	s_branch .LBB0_152
.LBB0_457:
	s_mov_b64 s[8:9], 0xffffffff
	v_cmp_lt_u64_e32 vcc, s[8:9], v[12:13]
	v_mov_b32_e32 v9, v12
	s_mov_b64 s[10:11], 0
	s_mov_b64 s[12:13], 0
                                        ; implicit-def: $vgpr13
	s_and_saveexec_b64 s[8:9], vcc
	s_cbranch_execz .LBB0_461
; %bb.458:
	v_cmp_ne_u32_e32 vcc, v14, v10
	s_mov_b64 s[12:13], -1
	v_mov_b64_e32 v[10:11], v[8:9]
                                        ; implicit-def: $vgpr13
	s_and_saveexec_b64 s[14:15], vcc
; %bb.459:
	s_mov_b64 s[10:11], exec
	v_add_u32_e32 v13, -1, v8
	v_add_u32_e32 v11, 1, v12
	s_xor_b64 s[12:13], exec, -1
; %bb.460:
	s_or_b64 exec, exec, s[14:15]
	s_and_b64 s[12:13], s[12:13], exec
	s_and_b64 s[10:11], s[10:11], exec
.LBB0_461:
	s_or_b64 exec, exec, s[8:9]
	s_and_b64 s[8:9], s[12:13], exec
	s_orn2_b64 s[10:11], s[10:11], exec
	v_mov_b64_e32 v[6:7], v[8:9]
	v_mov_b32_e32 v8, v13
	s_or_b64 exec, exec, s[4:5]
	v_mov_b64_e32 v[12:13], 0xffffffff
	s_and_saveexec_b64 s[4:5], s[10:11]
	s_cbranch_execz .LBB0_180
.LBB0_462:
	v_mov_b32_e32 v9, 0
	s_or_b64 s[8:9], s[8:9], exec
	v_mov_b64_e32 v[12:13], v[8:9]
	s_or_b64 exec, exec, s[4:5]
	s_and_saveexec_b64 s[4:5], s[8:9]
	s_cbranch_execnz .LBB0_181
	s_branch .LBB0_182
.LBB0_463:
	s_movk_i32 s0, 0x54
	v_cmp_eq_u32_e32 vcc, s0, v10
	s_and_b64 s[0:1], vcc, exec
	s_andn2_saveexec_b64 s[2:3], s[2:3]
	s_cbranch_execz .LBB0_190
.LBB0_464:
	s_movk_i32 s12, 0x48
	v_cmp_eq_u32_e32 vcc, s12, v10
	s_andn2_b64 s[0:1], s[0:1], exec
	s_and_b64 s[12:13], vcc, exec
	s_or_b64 s[0:1], s[0:1], s[12:13]
	s_or_b64 exec, exec, s[2:3]
	v_mov_b64_e32 v[4:5], v[2:3]
	s_and_saveexec_b64 s[12:13], s[0:1]
	s_cbranch_execnz .LBB0_191
	s_branch .LBB0_192
	.section	.rodata,"a",@progbits
	.p2align	6, 0x0
	.amdhsa_kernel _Z17intt_3_64k_modcrtPjPKm
		.amdhsa_group_segment_fixed_size 4096
		.amdhsa_private_segment_fixed_size 0
		.amdhsa_kernarg_size 16
		.amdhsa_user_sgpr_count 2
		.amdhsa_user_sgpr_dispatch_ptr 0
		.amdhsa_user_sgpr_queue_ptr 0
		.amdhsa_user_sgpr_kernarg_segment_ptr 1
		.amdhsa_user_sgpr_dispatch_id 0
		.amdhsa_user_sgpr_kernarg_preload_length 0
		.amdhsa_user_sgpr_kernarg_preload_offset 0
		.amdhsa_user_sgpr_private_segment_size 0
		.amdhsa_uses_dynamic_stack 0
		.amdhsa_enable_private_segment 0
		.amdhsa_system_sgpr_workgroup_id_x 1
		.amdhsa_system_sgpr_workgroup_id_y 0
		.amdhsa_system_sgpr_workgroup_id_z 0
		.amdhsa_system_sgpr_workgroup_info 0
		.amdhsa_system_vgpr_workitem_id 0
		.amdhsa_next_free_vgpr 37
		.amdhsa_next_free_sgpr 23
		.amdhsa_accum_offset 40
		.amdhsa_reserve_vcc 1
		.amdhsa_float_round_mode_32 0
		.amdhsa_float_round_mode_16_64 0
		.amdhsa_float_denorm_mode_32 3
		.amdhsa_float_denorm_mode_16_64 3
		.amdhsa_dx10_clamp 1
		.amdhsa_ieee_mode 1
		.amdhsa_fp16_overflow 0
		.amdhsa_tg_split 0
		.amdhsa_exception_fp_ieee_invalid_op 0
		.amdhsa_exception_fp_denorm_src 0
		.amdhsa_exception_fp_ieee_div_zero 0
		.amdhsa_exception_fp_ieee_overflow 0
		.amdhsa_exception_fp_ieee_underflow 0
		.amdhsa_exception_fp_ieee_inexact 0
		.amdhsa_exception_int_div_zero 0
	.end_amdhsa_kernel
	.text
.Lfunc_end0:
	.size	_Z17intt_3_64k_modcrtPjPKm, .Lfunc_end0-_Z17intt_3_64k_modcrtPjPKm
                                        ; -- End function
	.set _Z17intt_3_64k_modcrtPjPKm.num_vgpr, 37
	.set _Z17intt_3_64k_modcrtPjPKm.num_agpr, 0
	.set _Z17intt_3_64k_modcrtPjPKm.numbered_sgpr, 23
	.set _Z17intt_3_64k_modcrtPjPKm.num_named_barrier, 0
	.set _Z17intt_3_64k_modcrtPjPKm.private_seg_size, 0
	.set _Z17intt_3_64k_modcrtPjPKm.uses_vcc, 1
	.set _Z17intt_3_64k_modcrtPjPKm.uses_flat_scratch, 0
	.set _Z17intt_3_64k_modcrtPjPKm.has_dyn_sized_stack, 0
	.set _Z17intt_3_64k_modcrtPjPKm.has_recursion, 0
	.set _Z17intt_3_64k_modcrtPjPKm.has_indirect_call, 0
	.section	.AMDGPU.csdata,"",@progbits
; Kernel info:
; codeLenInByte = 13076
; TotalNumSgprs: 29
; NumVgprs: 37
; NumAgprs: 0
; TotalNumVgprs: 37
; ScratchSize: 0
; MemoryBound: 0
; FloatMode: 240
; IeeeMode: 1
; LDSByteSize: 4096 bytes/workgroup (compile time only)
; SGPRBlocks: 3
; VGPRBlocks: 4
; NumSGPRsForWavesPerEU: 29
; NumVGPRsForWavesPerEU: 37
; AccumOffset: 40
; Occupancy: 8
; WaveLimiterHint : 0
; COMPUTE_PGM_RSRC2:SCRATCH_EN: 0
; COMPUTE_PGM_RSRC2:USER_SGPR: 2
; COMPUTE_PGM_RSRC2:TRAP_HANDLER: 0
; COMPUTE_PGM_RSRC2:TGID_X_EN: 1
; COMPUTE_PGM_RSRC2:TGID_Y_EN: 0
; COMPUTE_PGM_RSRC2:TGID_Z_EN: 0
; COMPUTE_PGM_RSRC2:TIDIG_COMP_CNT: 0
; COMPUTE_PGM_RSRC3_GFX90A:ACCUM_OFFSET: 9
; COMPUTE_PGM_RSRC3_GFX90A:TG_SPLIT: 0
	.text
	.p2alignl 6, 3212836864
	.fill 256, 4, 3212836864
	.section	.AMDGPU.gpr_maximums,"",@progbits
	.set amdgpu.max_num_vgpr, 0
	.set amdgpu.max_num_agpr, 0
	.set amdgpu.max_num_sgpr, 0
	.text
	.type	__hip_cuid_66fa024a8d46c558,@object ; @__hip_cuid_66fa024a8d46c558
	.section	.bss,"aw",@nobits
	.globl	__hip_cuid_66fa024a8d46c558
__hip_cuid_66fa024a8d46c558:
	.byte	0                               ; 0x0
	.size	__hip_cuid_66fa024a8d46c558, 1

	.ident	"AMD clang version 22.0.0git (https://github.com/RadeonOpenCompute/llvm-project roc-7.2.4 26084 f58b06dce1f9c15707c5f808fd002e18c2accf7e)"
	.section	".note.GNU-stack","",@progbits
	.addrsig
	.addrsig_sym __hip_cuid_66fa024a8d46c558
	.amdgpu_metadata
---
amdhsa.kernels:
  - .agpr_count:     0
    .args:
      - .actual_access:  write_only
        .address_space:  global
        .offset:         0
        .size:           8
        .value_kind:     global_buffer
      - .actual_access:  read_only
        .address_space:  global
        .offset:         8
        .size:           8
        .value_kind:     global_buffer
    .group_segment_fixed_size: 4096
    .kernarg_segment_align: 8
    .kernarg_segment_size: 16
    .language:       OpenCL C
    .language_version:
      - 2
      - 0
    .max_flat_workgroup_size: 1024
    .name:           _Z17intt_3_64k_modcrtPjPKm
    .private_segment_fixed_size: 0
    .sgpr_count:     29
    .sgpr_spill_count: 0
    .symbol:         _Z17intt_3_64k_modcrtPjPKm.kd
    .uniform_work_group_size: 1
    .uses_dynamic_stack: false
    .vgpr_count:     37
    .vgpr_spill_count: 0
    .wavefront_size: 64
amdhsa.target:   amdgcn-amd-amdhsa--gfx950
amdhsa.version:
  - 1
  - 2
...

	.end_amdgpu_metadata
